;; amdgpu-corpus repo=ROCm/rocFFT kind=compiled arch=gfx950 opt=O3
	.text
	.amdgcn_target "amdgcn-amd-amdhsa--gfx950"
	.amdhsa_code_object_version 6
	.protected	fft_rtc_back_len2700_factors_3_10_10_3_3_wgs_90_tpt_90_halfLds_dp_ip_CI_unitstride_sbrr_R2C_dirReg ; -- Begin function fft_rtc_back_len2700_factors_3_10_10_3_3_wgs_90_tpt_90_halfLds_dp_ip_CI_unitstride_sbrr_R2C_dirReg
	.globl	fft_rtc_back_len2700_factors_3_10_10_3_3_wgs_90_tpt_90_halfLds_dp_ip_CI_unitstride_sbrr_R2C_dirReg
	.p2align	8
	.type	fft_rtc_back_len2700_factors_3_10_10_3_3_wgs_90_tpt_90_halfLds_dp_ip_CI_unitstride_sbrr_R2C_dirReg,@function
fft_rtc_back_len2700_factors_3_10_10_3_3_wgs_90_tpt_90_halfLds_dp_ip_CI_unitstride_sbrr_R2C_dirReg: ; @fft_rtc_back_len2700_factors_3_10_10_3_3_wgs_90_tpt_90_halfLds_dp_ip_CI_unitstride_sbrr_R2C_dirReg
; %bb.0:
	s_load_dwordx2 s[8:9], s[0:1], 0x50
	s_load_dwordx4 s[4:7], s[0:1], 0x0
	s_load_dwordx2 s[10:11], s[0:1], 0x18
	v_mul_u32_u24_e32 v1, 0x2d9, v0
	v_add_u32_sdwa v6, s2, v1 dst_sel:DWORD dst_unused:UNUSED_PAD src0_sel:DWORD src1_sel:WORD_1
	v_mov_b32_e32 v4, 0
	s_waitcnt lgkmcnt(0)
	v_cmp_lt_u64_e64 s[2:3], s[6:7], 2
	v_mov_b32_e32 v7, v4
	s_and_b64 vcc, exec, s[2:3]
	v_mov_b64_e32 v[2:3], 0
	s_cbranch_vccnz .LBB0_8
; %bb.1:
	s_load_dwordx2 s[2:3], s[0:1], 0x10
	s_add_u32 s12, s10, 8
	s_addc_u32 s13, s11, 0
	s_mov_b64 s[14:15], 1
	v_mov_b64_e32 v[2:3], 0
	s_waitcnt lgkmcnt(0)
	s_add_u32 s16, s2, 8
	s_addc_u32 s17, s3, 0
.LBB0_2:                                ; =>This Inner Loop Header: Depth=1
	s_load_dwordx2 s[18:19], s[16:17], 0x0
                                        ; implicit-def: $vgpr8_vgpr9
	s_waitcnt lgkmcnt(0)
	v_or_b32_e32 v5, s19, v7
	v_cmp_ne_u64_e32 vcc, 0, v[4:5]
	s_and_saveexec_b64 s[2:3], vcc
	s_xor_b64 s[20:21], exec, s[2:3]
	s_cbranch_execz .LBB0_4
; %bb.3:                                ;   in Loop: Header=BB0_2 Depth=1
	v_cvt_f32_u32_e32 v1, s18
	v_cvt_f32_u32_e32 v5, s19
	s_sub_u32 s2, 0, s18
	s_subb_u32 s3, 0, s19
	v_fmac_f32_e32 v1, 0x4f800000, v5
	v_rcp_f32_e32 v1, v1
	s_nop 0
	v_mul_f32_e32 v1, 0x5f7ffffc, v1
	v_mul_f32_e32 v5, 0x2f800000, v1
	v_trunc_f32_e32 v5, v5
	v_fmac_f32_e32 v1, 0xcf800000, v5
	v_cvt_u32_f32_e32 v5, v5
	v_cvt_u32_f32_e32 v1, v1
	v_mul_lo_u32 v8, s2, v5
	v_mul_hi_u32 v10, s2, v1
	v_mul_lo_u32 v9, s3, v1
	v_add_u32_e32 v10, v10, v8
	v_mul_lo_u32 v12, s2, v1
	v_add_u32_e32 v13, v10, v9
	v_mul_hi_u32 v8, v1, v12
	v_mul_hi_u32 v11, v1, v13
	v_mul_lo_u32 v10, v1, v13
	v_mov_b32_e32 v9, v4
	v_lshl_add_u64 v[8:9], v[8:9], 0, v[10:11]
	v_mul_hi_u32 v11, v5, v12
	v_mul_lo_u32 v12, v5, v12
	v_add_co_u32_e32 v8, vcc, v8, v12
	v_mul_hi_u32 v10, v5, v13
	s_nop 0
	v_addc_co_u32_e32 v8, vcc, v9, v11, vcc
	v_mov_b32_e32 v9, v4
	s_nop 0
	v_addc_co_u32_e32 v11, vcc, 0, v10, vcc
	v_mul_lo_u32 v10, v5, v13
	v_lshl_add_u64 v[8:9], v[8:9], 0, v[10:11]
	v_add_co_u32_e32 v1, vcc, v1, v8
	v_mul_lo_u32 v10, s2, v1
	s_nop 0
	v_addc_co_u32_e32 v5, vcc, v5, v9, vcc
	v_mul_lo_u32 v8, s2, v5
	v_mul_hi_u32 v9, s2, v1
	v_add_u32_e32 v8, v9, v8
	v_mul_lo_u32 v9, s3, v1
	v_add_u32_e32 v12, v8, v9
	v_mul_hi_u32 v14, v5, v10
	v_mul_lo_u32 v15, v5, v10
	v_mul_hi_u32 v9, v1, v12
	v_mul_lo_u32 v8, v1, v12
	v_mul_hi_u32 v10, v1, v10
	v_mov_b32_e32 v11, v4
	v_lshl_add_u64 v[8:9], v[10:11], 0, v[8:9]
	v_add_co_u32_e32 v8, vcc, v8, v15
	v_mul_hi_u32 v13, v5, v12
	s_nop 0
	v_addc_co_u32_e32 v8, vcc, v9, v14, vcc
	v_mul_lo_u32 v10, v5, v12
	s_nop 0
	v_addc_co_u32_e32 v11, vcc, 0, v13, vcc
	v_mov_b32_e32 v9, v4
	v_lshl_add_u64 v[8:9], v[8:9], 0, v[10:11]
	v_add_co_u32_e32 v1, vcc, v1, v8
	v_mul_hi_u32 v10, v6, v1
	s_nop 0
	v_addc_co_u32_e32 v5, vcc, v5, v9, vcc
	v_mad_u64_u32 v[8:9], s[2:3], v6, v5, 0
	v_mov_b32_e32 v11, v4
	v_lshl_add_u64 v[8:9], v[10:11], 0, v[8:9]
	v_mad_u64_u32 v[12:13], s[2:3], v7, v1, 0
	v_add_co_u32_e32 v1, vcc, v8, v12
	v_mad_u64_u32 v[10:11], s[2:3], v7, v5, 0
	s_nop 0
	v_addc_co_u32_e32 v8, vcc, v9, v13, vcc
	v_mov_b32_e32 v9, v4
	s_nop 0
	v_addc_co_u32_e32 v11, vcc, 0, v11, vcc
	v_lshl_add_u64 v[8:9], v[8:9], 0, v[10:11]
	v_mul_lo_u32 v1, s19, v8
	v_mul_lo_u32 v5, s18, v9
	v_mad_u64_u32 v[10:11], s[2:3], s18, v8, 0
	v_add3_u32 v1, v11, v5, v1
	v_sub_u32_e32 v5, v7, v1
	v_mov_b32_e32 v11, s19
	v_sub_co_u32_e32 v14, vcc, v6, v10
	v_lshl_add_u64 v[12:13], v[8:9], 0, 1
	s_nop 0
	v_subb_co_u32_e64 v5, s[2:3], v5, v11, vcc
	v_subrev_co_u32_e64 v10, s[2:3], s18, v14
	v_subb_co_u32_e32 v1, vcc, v7, v1, vcc
	s_nop 0
	v_subbrev_co_u32_e64 v5, s[2:3], 0, v5, s[2:3]
	v_cmp_le_u32_e64 s[2:3], s19, v5
	v_cmp_le_u32_e32 vcc, s19, v1
	s_nop 0
	v_cndmask_b32_e64 v11, 0, -1, s[2:3]
	v_cmp_le_u32_e64 s[2:3], s18, v10
	s_nop 1
	v_cndmask_b32_e64 v10, 0, -1, s[2:3]
	v_cmp_eq_u32_e64 s[2:3], s19, v5
	s_nop 1
	v_cndmask_b32_e64 v5, v11, v10, s[2:3]
	v_lshl_add_u64 v[10:11], v[8:9], 0, 2
	v_cmp_ne_u32_e64 s[2:3], 0, v5
	s_nop 1
	v_cndmask_b32_e64 v5, v13, v11, s[2:3]
	v_cndmask_b32_e64 v11, 0, -1, vcc
	v_cmp_le_u32_e32 vcc, s18, v14
	s_nop 1
	v_cndmask_b32_e64 v13, 0, -1, vcc
	v_cmp_eq_u32_e32 vcc, s19, v1
	s_nop 1
	v_cndmask_b32_e32 v1, v11, v13, vcc
	v_cmp_ne_u32_e32 vcc, 0, v1
	v_cndmask_b32_e64 v1, v12, v10, s[2:3]
	s_nop 0
	v_cndmask_b32_e32 v9, v9, v5, vcc
	v_cndmask_b32_e32 v8, v8, v1, vcc
.LBB0_4:                                ;   in Loop: Header=BB0_2 Depth=1
	s_andn2_saveexec_b64 s[2:3], s[20:21]
	s_cbranch_execz .LBB0_6
; %bb.5:                                ;   in Loop: Header=BB0_2 Depth=1
	v_cvt_f32_u32_e32 v1, s18
	s_sub_i32 s20, 0, s18
	v_rcp_iflag_f32_e32 v1, v1
	s_nop 0
	v_mul_f32_e32 v1, 0x4f7ffffe, v1
	v_cvt_u32_f32_e32 v1, v1
	v_mul_lo_u32 v5, s20, v1
	v_mul_hi_u32 v5, v1, v5
	v_add_u32_e32 v1, v1, v5
	v_mul_hi_u32 v1, v6, v1
	v_mul_lo_u32 v5, v1, s18
	v_sub_u32_e32 v5, v6, v5
	v_add_u32_e32 v8, 1, v1
	v_subrev_u32_e32 v9, s18, v5
	v_cmp_le_u32_e32 vcc, s18, v5
	s_nop 1
	v_cndmask_b32_e32 v5, v5, v9, vcc
	v_cndmask_b32_e32 v1, v1, v8, vcc
	v_add_u32_e32 v8, 1, v1
	v_cmp_le_u32_e32 vcc, s18, v5
	v_mov_b32_e32 v9, v4
	s_nop 0
	v_cndmask_b32_e32 v8, v1, v8, vcc
.LBB0_6:                                ;   in Loop: Header=BB0_2 Depth=1
	s_or_b64 exec, exec, s[2:3]
	v_mad_u64_u32 v[10:11], s[2:3], v8, s18, 0
	s_load_dwordx2 s[2:3], s[12:13], 0x0
	v_mul_lo_u32 v1, v9, s18
	v_mul_lo_u32 v5, v8, s19
	v_add3_u32 v1, v11, v5, v1
	v_sub_co_u32_e32 v5, vcc, v6, v10
	s_add_u32 s14, s14, 1
	s_nop 0
	v_subb_co_u32_e32 v1, vcc, v7, v1, vcc
	s_addc_u32 s15, s15, 0
	s_waitcnt lgkmcnt(0)
	v_mul_lo_u32 v1, s2, v1
	v_mul_lo_u32 v6, s3, v5
	v_mad_u64_u32 v[2:3], s[2:3], s2, v5, v[2:3]
	s_add_u32 s12, s12, 8
	v_add3_u32 v3, v6, v3, v1
	s_addc_u32 s13, s13, 0
	v_mov_b64_e32 v[6:7], s[6:7]
	s_add_u32 s16, s16, 8
	v_cmp_ge_u64_e32 vcc, s[14:15], v[6:7]
	s_addc_u32 s17, s17, 0
	s_cbranch_vccnz .LBB0_9
; %bb.7:                                ;   in Loop: Header=BB0_2 Depth=1
	v_mov_b64_e32 v[6:7], v[8:9]
	s_branch .LBB0_2
.LBB0_8:
	v_mov_b64_e32 v[8:9], v[6:7]
.LBB0_9:
	s_lshl_b64 s[2:3], s[6:7], 3
	s_add_u32 s2, s10, s2
	s_addc_u32 s3, s11, s3
	s_load_dwordx2 s[6:7], s[2:3], 0x0
	s_load_dwordx2 s[10:11], s[0:1], 0x20
	s_mov_b32 s2, 0x2d82d83
                                        ; implicit-def: $vgpr204
                                        ; implicit-def: $vgpr220
                                        ; implicit-def: $vgpr218
                                        ; implicit-def: $vgpr130
                                        ; implicit-def: $vgpr128
                                        ; implicit-def: $vgpr246
                                        ; implicit-def: $vgpr216
                                        ; implicit-def: $vgpr214
                                        ; implicit-def: $vgpr202
	s_waitcnt lgkmcnt(0)
	v_mul_lo_u32 v1, s6, v9
	v_mul_lo_u32 v4, s7, v8
	v_mad_u64_u32 v[2:3], s[0:1], s6, v8, v[2:3]
	v_add3_u32 v3, v4, v3, v1
	v_mul_hi_u32 v1, v0, s2
	v_mul_u32_u24_e32 v1, 0x5a, v1
	v_cmp_gt_u64_e64 s[0:1], s[10:11], v[8:9]
	v_cmp_le_u64_e32 vcc, s[10:11], v[8:9]
	v_sub_u32_e32 v200, v0, v1
	s_and_saveexec_b64 s[2:3], vcc
	s_xor_b64 s[2:3], exec, s[2:3]
; %bb.10:
	v_add_u32_e32 v204, 0x5a, v200
	v_add_u32_e32 v220, 0xb4, v200
	;; [unrolled: 1-line block ×9, first 2 shown]
; %bb.11:
	s_or_saveexec_b64 s[2:3], s[2:3]
	v_lshl_add_u64 v[0:1], v[2:3], 4, s[8:9]
	v_accvgpr_write_b32 a0, v0
	v_accvgpr_write_b32 a1, v1
	s_xor_b64 exec, exec, s[2:3]
	s_cbranch_execz .LBB0_13
; %bb.12:
	v_accvgpr_read_b32 v0, a0
	v_mov_b32_e32 v201, 0
	v_accvgpr_read_b32 v1, a1
	v_lshl_add_u64 v[112:113], v[200:201], 4, v[0:1]
	s_movk_i32 s6, 0x1000
	v_add_co_u32_e32 v24, vcc, s6, v112
	s_movk_i32 s6, 0x2000
	s_nop 0
	v_addc_co_u32_e32 v25, vcc, 0, v113, vcc
	v_add_co_u32_e32 v64, vcc, s6, v112
	s_movk_i32 s7, 0x3000
	s_nop 0
	v_addc_co_u32_e32 v65, vcc, 0, v113, vcc
	;; [unrolled: 4-line block ×6, first 2 shown]
	v_add_co_u32_e32 v104, vcc, s7, v112
	s_mov_b32 s8, 0x8000
	s_nop 0
	v_addc_co_u32_e32 v105, vcc, 0, v113, vcc
	v_add_co_u32_e32 v106, vcc, s8, v112
	global_load_dwordx4 v[0:3], v[112:113], off
	global_load_dwordx4 v[4:7], v[112:113], off offset:1440
	v_addc_co_u32_e32 v107, vcc, 0, v113, vcc
	v_add_co_u32_e32 v120, vcc, 0x9000, v112
	global_load_dwordx4 v[8:11], v[112:113], off offset:2880
	global_load_dwordx4 v[12:15], v[24:25], off offset:224
	v_addc_co_u32_e32 v121, vcc, 0, v113, vcc
	v_add_co_u32_e32 v122, vcc, 0xa000, v112
	global_load_dwordx4 v[16:19], v[24:25], off offset:1664
	global_load_dwordx4 v[20:23], v[24:25], off offset:3104
	s_nop 0
	global_load_dwordx4 v[24:27], v[64:65], off offset:448
	global_load_dwordx4 v[28:31], v[64:65], off offset:1888
	;; [unrolled: 1-line block ×10, first 2 shown]
	s_nop 0
	global_load_dwordx4 v[64:67], v[88:89], off offset:2560
	global_load_dwordx4 v[68:71], v[88:89], off offset:4000
	;; [unrolled: 1-line block ×6, first 2 shown]
	s_nop 0
	global_load_dwordx4 v[88:91], v[104:105], off offset:3008
	global_load_dwordx4 v[92:95], v[106:107], off offset:352
	;; [unrolled: 1-line block ×4, first 2 shown]
	s_nop 0
	global_load_dwordx4 v[104:107], v[120:121], off offset:576
	global_load_dwordx4 v[108:111], v[120:121], off offset:2016
	v_addc_co_u32_e32 v123, vcc, 0, v113, vcc
	global_load_dwordx4 v[112:115], v[120:121], off offset:3456
	global_load_dwordx4 v[116:119], v[122:123], off offset:800
	v_lshl_add_u32 v120, v200, 4, 0
	v_add_u32_e32 v204, 0x5a, v200
	v_add_u32_e32 v220, 0xb4, v200
	;; [unrolled: 1-line block ×9, first 2 shown]
	s_waitcnt vmcnt(29)
	ds_write_b128 v120, v[0:3]
	s_waitcnt vmcnt(28)
	ds_write_b128 v120, v[4:7] offset:1440
	s_waitcnt vmcnt(27)
	ds_write_b128 v120, v[8:11] offset:2880
	;; [unrolled: 2-line block ×29, first 2 shown]
.LBB0_13:
	s_or_b64 exec, exec, s[2:3]
	v_lshlrev_b32_e32 v0, 4, v200
	v_add_u32_e32 v240, 0, v0
	s_waitcnt lgkmcnt(0)
	s_barrier
	v_accvgpr_write_b32 a3, v0
	ds_read_b128 v[32:35], v240
	ds_read_b128 v[104:107], v240 offset:14400
	ds_read_b128 v[108:111], v240 offset:28800
	;; [unrolled: 1-line block ×29, first 2 shown]
	s_waitcnt lgkmcnt(14)
	v_add_f64 v[80:81], v[32:33], v[104:105]
	v_add_f64 v[88:89], v[80:81], v[108:109]
	;; [unrolled: 1-line block ×3, first 2 shown]
	s_mov_b32 s2, 0xe8584caa
	v_fmac_f64_e32 v[32:33], -0.5, v[80:81]
	v_add_f64 v[82:83], v[106:107], -v[110:111]
	s_mov_b32 s3, 0xbfebb67a
	s_mov_b32 s7, 0x3febb67a
	s_mov_b32 s6, s2
	v_fma_f64 v[80:81], s[2:3], v[82:83], v[32:33]
	v_fmac_f64_e32 v[32:33], s[6:7], v[82:83]
	v_add_f64 v[82:83], v[34:35], v[106:107]
	v_add_f64 v[90:91], v[82:83], v[110:111]
	v_add_f64 v[82:83], v[106:107], v[110:111]
	v_fmac_f64_e32 v[34:35], -0.5, v[82:83]
	v_add_f64 v[104:105], v[104:105], -v[108:109]
	v_fma_f64 v[82:83], s[6:7], v[104:105], v[34:35]
	v_fmac_f64_e32 v[34:35], s[2:3], v[104:105]
	v_add_f64 v[104:105], v[28:29], v[112:113]
	v_add_f64 v[108:109], v[104:105], v[116:117]
	v_add_f64 v[104:105], v[112:113], v[116:117]
	v_fmac_f64_e32 v[28:29], -0.5, v[104:105]
	v_add_f64 v[106:107], v[114:115], -v[118:119]
	;; [unrolled: 7-line block ×6, first 2 shown]
	v_fma_f64 v[120:121], s[2:3], v[122:123], v[20:21]
	v_fmac_f64_e32 v[20:21], s[6:7], v[122:123]
	v_add_f64 v[122:123], v[22:23], v[98:99]
	v_add_f64 v[98:99], v[98:99], v[102:103]
	v_fmac_f64_e32 v[22:23], -0.5, v[98:99]
	v_add_f64 v[96:97], v[96:97], -v[100:101]
	v_add_f64 v[126:127], v[122:123], v[102:103]
	v_fma_f64 v[122:123], s[6:7], v[96:97], v[22:23]
	v_fmac_f64_e32 v[22:23], s[2:3], v[96:97]
	v_add_f64 v[96:97], v[16:17], v[72:73]
	v_add_f64 v[100:101], v[96:97], v[76:77]
	;; [unrolled: 1-line block ×3, first 2 shown]
	v_fmac_f64_e32 v[16:17], -0.5, v[96:97]
	v_add_f64 v[98:99], v[74:75], -v[78:79]
	v_fma_f64 v[96:97], s[2:3], v[98:99], v[16:17]
	v_fmac_f64_e32 v[16:17], s[6:7], v[98:99]
	v_add_f64 v[98:99], v[18:19], v[74:75]
	v_add_f64 v[74:75], v[74:75], v[78:79]
	v_fmac_f64_e32 v[18:19], -0.5, v[74:75]
	v_add_f64 v[72:73], v[72:73], -v[76:77]
	v_add_f64 v[102:103], v[98:99], v[78:79]
	v_fma_f64 v[98:99], s[6:7], v[72:73], v[18:19]
	v_fmac_f64_e32 v[18:19], s[2:3], v[72:73]
	s_waitcnt lgkmcnt(12)
	v_add_f64 v[72:73], v[12:13], v[64:65]
	s_waitcnt lgkmcnt(10)
	v_add_f64 v[76:77], v[72:73], v[68:69]
	v_add_f64 v[72:73], v[64:65], v[68:69]
	v_fmac_f64_e32 v[12:13], -0.5, v[72:73]
	v_add_f64 v[74:75], v[66:67], -v[70:71]
	v_fma_f64 v[72:73], s[2:3], v[74:75], v[12:13]
	v_fmac_f64_e32 v[12:13], s[6:7], v[74:75]
	v_add_f64 v[74:75], v[14:15], v[66:67]
	v_add_f64 v[66:67], v[66:67], v[70:71]
	v_fmac_f64_e32 v[14:15], -0.5, v[66:67]
	v_add_f64 v[64:65], v[64:65], -v[68:69]
	v_add_f64 v[78:79], v[74:75], v[70:71]
	v_fma_f64 v[74:75], s[6:7], v[64:65], v[14:15]
	v_fmac_f64_e32 v[14:15], s[2:3], v[64:65]
	v_add_f64 v[64:65], v[8:9], v[56:57]
	s_waitcnt lgkmcnt(9)
	v_add_f64 v[68:69], v[64:65], v[60:61]
	v_add_f64 v[64:65], v[56:57], v[60:61]
	v_fmac_f64_e32 v[8:9], -0.5, v[64:65]
	v_add_f64 v[66:67], v[58:59], -v[62:63]
	v_fma_f64 v[64:65], s[2:3], v[66:67], v[8:9]
	v_fmac_f64_e32 v[8:9], s[6:7], v[66:67]
	v_add_f64 v[66:67], v[10:11], v[58:59]
	v_add_f64 v[58:59], v[58:59], v[62:63]
	v_fmac_f64_e32 v[10:11], -0.5, v[58:59]
	v_add_f64 v[56:57], v[56:57], -v[60:61]
	v_add_f64 v[70:71], v[66:67], v[62:63]
	v_fma_f64 v[66:67], s[6:7], v[56:57], v[10:11]
	v_fmac_f64_e32 v[10:11], s[2:3], v[56:57]
	s_waitcnt lgkmcnt(6)
	v_add_f64 v[56:57], v[4:5], v[48:49]
	s_waitcnt lgkmcnt(4)
	v_add_f64 v[60:61], v[56:57], v[52:53]
	v_add_f64 v[56:57], v[48:49], v[52:53]
	v_fmac_f64_e32 v[4:5], -0.5, v[56:57]
	v_add_f64 v[58:59], v[50:51], -v[54:55]
	v_fma_f64 v[56:57], s[2:3], v[58:59], v[4:5]
	v_fmac_f64_e32 v[4:5], s[6:7], v[58:59]
	v_add_f64 v[58:59], v[6:7], v[50:51]
	v_add_f64 v[50:51], v[50:51], v[54:55]
	v_fmac_f64_e32 v[6:7], -0.5, v[50:51]
	v_add_f64 v[48:49], v[48:49], -v[52:53]
	v_add_f64 v[62:63], v[58:59], v[54:55]
	v_fma_f64 v[58:59], s[6:7], v[48:49], v[6:7]
	v_fmac_f64_e32 v[6:7], s[2:3], v[48:49]
	v_add_f64 v[48:49], v[0:1], v[40:41]
	s_waitcnt lgkmcnt(3)
	v_add_f64 v[52:53], v[48:49], v[44:45]
	v_add_f64 v[48:49], v[40:41], v[44:45]
	v_fmac_f64_e32 v[0:1], -0.5, v[48:49]
	v_add_f64 v[50:51], v[42:43], -v[46:47]
	v_fma_f64 v[48:49], s[2:3], v[50:51], v[0:1]
	v_fmac_f64_e32 v[0:1], s[6:7], v[50:51]
	v_add_f64 v[50:51], v[2:3], v[42:43]
	v_add_f64 v[42:43], v[42:43], v[46:47]
	v_fmac_f64_e32 v[2:3], -0.5, v[42:43]
	v_add_f64 v[40:41], v[40:41], -v[44:45]
	v_add_f64 v[54:55], v[50:51], v[46:47]
	v_fma_f64 v[50:51], s[6:7], v[40:41], v[2:3]
	v_fmac_f64_e32 v[2:3], s[2:3], v[40:41]
	s_waitcnt lgkmcnt(1)
	v_add_f64 v[40:41], v[36:37], v[84:85]
	s_waitcnt lgkmcnt(0)
	v_add_f64 v[44:45], v[40:41], v[92:93]
	v_add_f64 v[40:41], v[84:85], v[92:93]
	v_fmac_f64_e32 v[36:37], -0.5, v[40:41]
	v_add_f64 v[42:43], v[86:87], -v[94:95]
	v_fma_f64 v[40:41], s[2:3], v[42:43], v[36:37]
	v_fmac_f64_e32 v[36:37], s[6:7], v[42:43]
	v_add_f64 v[42:43], v[38:39], v[86:87]
	v_add_f64 v[46:47], v[42:43], v[94:95]
	;; [unrolled: 1-line block ×3, first 2 shown]
	v_fmac_f64_e32 v[38:39], -0.5, v[42:43]
	v_add_f64 v[84:85], v[84:85], -v[92:93]
	v_fma_f64 v[42:43], s[6:7], v[84:85], v[38:39]
	v_fmac_f64_e32 v[38:39], s[2:3], v[84:85]
	v_mad_u32_u24 v84, v200, 48, 0
	s_barrier
	ds_write_b128 v84, v[88:91]
	ds_write_b128 v84, v[80:83] offset:16
	ds_write_b128 v84, v[32:35] offset:32
	v_mad_i32_i24 v32, v204, 48, 0
	ds_write_b128 v32, v[108:111]
	ds_write_b128 v32, v[104:107] offset:16
	ds_write_b128 v32, v[28:31] offset:32
	v_mad_i32_i24 v28, v220, 48, 0
	;; [unrolled: 4-line block ×3, first 2 shown]
	v_accvgpr_write_b32 a7, v131            ;  Reload Reuse
	ds_write_b128 v24, v[124:127]
	ds_write_b128 v24, v[120:123] offset:16
	ds_write_b128 v24, v[20:23] offset:32
	v_mad_i32_i24 v20, v130, 48, 0
	v_accvgpr_write_b32 a10, v129           ;  Reload Reuse
	ds_write_b128 v20, v[100:103]
	ds_write_b128 v20, v[96:99] offset:16
	ds_write_b128 v20, v[16:19] offset:32
	v_mad_i32_i24 v16, v128, 48, 0
	ds_write_b128 v16, v[76:79]
	ds_write_b128 v16, v[72:75] offset:16
	ds_write_b128 v16, v[12:15] offset:32
	v_mad_i32_i24 v12, v246, 48, 0
	;; [unrolled: 4-line block ×4, first 2 shown]
	s_movk_i32 s8, 0xab
	ds_write_b128 v4, v[52:55]
	ds_write_b128 v4, v[48:51] offset:16
	ds_write_b128 v4, v[0:3] offset:32
	v_mul_lo_u16_sdwa v0, v200, s8 dst_sel:DWORD dst_unused:UNUSED_PAD src0_sel:BYTE_0 src1_sel:DWORD
	v_lshrrev_b16_e32 v238, 9, v0
	v_mul_lo_u16_e32 v0, 3, v238
	v_sub_u16_e32 v239, v200, v0
	v_mov_b32_e32 v221, 9
	v_mul_u32_u24_sdwa v0, v239, v221 dst_sel:DWORD dst_unused:UNUSED_PAD src0_sel:BYTE_0 src1_sel:DWORD
	v_mad_i32_i24 v1, v202, 48, 0
	v_lshlrev_b32_e32 v0, 4, v0
	ds_write_b128 v1, v[44:47]
	ds_write_b128 v1, v[40:43] offset:16
	ds_write_b128 v1, v[36:39] offset:32
	s_waitcnt lgkmcnt(0)
	s_barrier
	global_load_dwordx4 v[88:91], v0, s[4:5]
	global_load_dwordx4 v[84:87], v0, s[4:5] offset:16
	global_load_dwordx4 v[76:79], v0, s[4:5] offset:32
	;; [unrolled: 1-line block ×3, first 2 shown]
	v_lshlrev_b32_e32 v2, 5, v246
	v_accvgpr_write_b32 a6, v2
	v_sub_u32_e32 v241, v12, v2
	v_lshlrev_b32_e32 v2, 5, v202
	v_accvgpr_write_b32 a2, v1
	v_sub_u32_e32 v219, v1, v2
	v_mul_lo_u16_sdwa v1, v204, s8 dst_sel:DWORD dst_unused:UNUSED_PAD src0_sel:BYTE_0 src1_sel:DWORD
	global_load_dwordx4 v[36:39], v0, s[4:5] offset:80
	global_load_dwordx4 v[48:51], v0, s[4:5] offset:64
	v_lshrrev_b16_e32 v203, 9, v1
	v_mul_lo_u16_e32 v1, 3, v203
	s_mov_b32 s8, 0xaaab
	v_lshl_add_u32 v4, v218, 4, 0
	v_accvgpr_write_b32 a4, v12
	ds_read_b128 v[148:151], v241
	ds_read_b128 v[136:139], v219
	ds_read_b128 v[80:83], v240 offset:17280
	ds_read_b128 v[20:23], v240 offset:18720
	;; [unrolled: 1-line block ×4, first 2 shown]
	global_load_dwordx4 v[32:35], v0, s[4:5] offset:112
	global_load_dwordx4 v[44:47], v0, s[4:5] offset:96
	v_sub_u16_e32 v201, v204, v1
	v_mul_u32_u24_sdwa v192, v220, s8 dst_sel:DWORD dst_unused:UNUSED_PAD src0_sel:WORD_0 src1_sel:DWORD
	ds_read_b128 v[152:155], v4
	ds_read_b128 v[16:19], v240 offset:31680
	ds_read_b128 v[28:31], v240 offset:38880
	ds_read_b128 v[8:11], v240 offset:40320
	global_load_dwordx4 v[92:95], v0, s[4:5] offset:128
	v_mul_u32_u24_sdwa v0, v201, v221 dst_sel:DWORD dst_unused:UNUSED_PAD src0_sel:BYTE_0 src1_sel:DWORD
	v_lshrrev_b32_e32 v205, 17, v192
	v_lshl_add_u32 v247, v204, 4, 0
	v_lshlrev_b32_e32 v188, 4, v0
	v_mul_lo_u16_e32 v192, 3, v205
	v_accvgpr_write_b32 a5, v2
	v_accvgpr_write_b32 a8, v4
	v_lshl_add_u32 v217, v220, 4, 0
	global_load_dwordx4 v[112:115], v188, s[4:5]
	ds_read_b128 v[4:7], v247
	ds_read_b128 v[0:3], v217
	global_load_dwordx4 v[100:103], v188, s[4:5] offset:32
	global_load_dwordx4 v[108:111], v188, s[4:5] offset:16
	v_sub_u16_e32 v215, v220, v192
	v_accvgpr_write_b32 a9, v130            ;  Reload Reuse
	v_accvgpr_write_b32 a11, v128           ;  Reload Reuse
	ds_read_b128 v[128:131], v240 offset:5760
	ds_read_b128 v[72:75], v240 offset:7200
	;; [unrolled: 1-line block ×8, first 2 shown]
	global_load_dwordx4 v[120:123], v188, s[4:5] offset:48
	ds_read_b128 v[104:107], v240 offset:23040
	ds_read_b128 v[52:55], v240 offset:24480
	global_load_dwordx4 v[176:179], v188, s[4:5] offset:64
	ds_read_b128 v[180:183], v240 offset:30240
	ds_read_b128 v[140:143], v240 offset:28800
	global_load_dwordx4 v[160:163], v188, s[4:5] offset:96
	global_load_dwordx4 v[172:175], v188, s[4:5] offset:80
	ds_read_b128 v[184:187], v240 offset:34560
	ds_read_b128 v[144:147], v240 offset:33120
	;; [unrolled: 1-line block ×4, first 2 shown]
	ds_read_b128 v[40:43], v240
	ds_read_b128 v[96:99], v240 offset:41760
	global_load_dwordx4 v[168:171], v188, s[4:5] offset:112
	s_nop 0
	global_load_dwordx4 v[188:191], v188, s[4:5] offset:128
	v_mul_u32_u24_e32 v192, 9, v215
	v_lshlrev_b32_e32 v210, 4, v192
	global_load_dwordx4 v[192:195], v210, s[4:5] offset:16
	global_load_dwordx4 v[196:199], v210, s[4:5]
	s_mov_b32 s16, 0x134454ff
	s_mov_b32 s17, 0xbfee6f0e
	;; [unrolled: 1-line block ×16, first 2 shown]
	s_movk_i32 s24, 0x89
	s_waitcnt vmcnt(19) lgkmcnt(14)
	v_mul_f64 v[222:223], v[154:155], v[90:91]
	v_mul_f64 v[90:91], v[152:153], v[90:91]
	v_fmac_f64_e32 v[222:223], v[152:153], v[88:89]
	v_fma_f64 v[224:225], v[154:155], v[88:89], -v[90:91]
	global_load_dwordx4 v[88:91], v210, s[4:5] offset:48
	global_load_dwordx4 v[152:155], v210, s[4:5] offset:32
	;; [unrolled: 1-line block ×6, first 2 shown]
	s_waitcnt vmcnt(22)
	v_mul_f64 v[236:237], v[82:83], v[26:27]
	global_load_dwordx4 v[210:213], v210, s[4:5] offset:128
	v_mul_f64 v[26:27], v[80:81], v[26:27]
	v_fmac_f64_e32 v[236:237], v[80:81], v[24:25]
	v_fma_f64 v[234:235], v[82:83], v[24:25], -v[26:27]
	s_waitcnt vmcnt(21) lgkmcnt(11)
	v_mul_f64 v[24:25], v[164:165], v[50:51]
	v_mul_f64 v[26:27], v[166:167], v[50:51]
	v_fma_f64 v[24:25], v[166:167], v[48:49], -v[24:25]
	v_mul_f64 v[166:167], v[58:59], v[38:39]
	v_mul_f64 v[38:39], v[56:57], v[38:39]
	v_fmac_f64_e32 v[26:27], v[164:165], v[48:49]
	v_fmac_f64_e32 v[166:167], v[56:57], v[36:37]
	v_fma_f64 v[164:165], v[58:59], v[36:37], -v[38:39]
	s_waitcnt vmcnt(19) lgkmcnt(7)
	v_mul_f64 v[36:37], v[182:183], v[46:47]
	v_mul_f64 v[38:39], v[180:181], v[46:47]
	v_fmac_f64_e32 v[36:37], v[180:181], v[44:45]
	v_fma_f64 v[38:39], v[182:183], v[44:45], -v[38:39]
	s_waitcnt vmcnt(18)
	v_mul_f64 v[44:45], v[30:31], v[94:95]
	v_mul_f64 v[228:229], v[138:139], v[78:79]
	;; [unrolled: 1-line block ×3, first 2 shown]
	s_waitcnt lgkmcnt(5)
	v_mul_f64 v[182:183], v[186:187], v[34:35]
	v_mul_f64 v[34:35], v[184:185], v[34:35]
	v_fmac_f64_e32 v[44:45], v[28:29], v[92:93]
	v_mul_f64 v[28:29], v[28:29], v[94:95]
	v_fma_f64 v[226:227], v[138:139], v[76:77], -v[78:79]
	v_fmac_f64_e32 v[182:183], v[184:185], v[32:33]
	v_fma_f64 v[180:181], v[186:187], v[32:33], -v[34:35]
	v_fma_f64 v[32:33], v[30:31], v[92:93], -v[28:29]
	s_waitcnt vmcnt(17)
	v_mul_f64 v[28:29], v[128:129], v[114:115]
	s_waitcnt vmcnt(15)
	v_mul_f64 v[138:139], v[126:127], v[110:111]
	v_mul_f64 v[232:233], v[150:151], v[86:87]
	v_fma_f64 v[78:79], v[130:131], v[112:113], -v[28:29]
	v_fmac_f64_e32 v[138:139], v[124:125], v[108:109]
	v_mul_f64 v[28:29], v[124:125], v[110:111]
	v_fmac_f64_e32 v[232:233], v[148:149], v[84:85]
	v_mul_f64 v[86:87], v[148:149], v[86:87]
	s_waitcnt vmcnt(14)
	v_mul_f64 v[148:149], v[22:23], v[122:123]
	v_fmac_f64_e32 v[228:229], v[136:137], v[76:77]
	v_mul_f64 v[76:77], v[130:131], v[114:115]
	s_waitcnt vmcnt(9)
	v_mul_f64 v[124:125], v[10:11], v[190:191]
	v_fmac_f64_e32 v[124:125], v[8:9], v[188:189]
	v_mul_f64 v[8:9], v[8:9], v[190:191]
	v_fmac_f64_e32 v[148:149], v[20:21], v[120:121]
	v_mul_f64 v[20:21], v[20:21], v[122:123]
	v_mul_f64 v[82:83], v[106:107], v[178:179]
	v_fma_f64 v[58:59], v[10:11], v[188:189], -v[8:9]
	s_waitcnt vmcnt(7)
	v_mul_f64 v[8:9], v[72:73], v[198:199]
	v_fmac_f64_e32 v[76:77], v[128:129], v[112:113]
	v_fma_f64 v[128:129], v[22:23], v[120:121], -v[20:21]
	v_fmac_f64_e32 v[82:83], v[104:105], v[176:177]
	v_mul_f64 v[20:21], v[104:105], v[178:179]
	v_fma_f64 v[104:105], v[74:75], v[196:197], -v[8:9]
	v_mul_f64 v[8:9], v[68:69], v[194:195]
	v_fma_f64 v[50:51], v[106:107], v[176:177], -v[20:21]
	v_fma_f64 v[106:107], v[70:71], v[192:193], -v[8:9]
	;; [unrolled: 1-line block ×4, first 2 shown]
	v_mul_f64 v[80:81], v[118:119], v[102:103]
	v_fmac_f64_e32 v[80:81], v[116:117], v[100:101]
	v_mul_f64 v[28:29], v[116:117], v[102:103]
	v_fma_f64 v[48:49], v[118:119], v[100:101], -v[28:29]
	v_mul_f64 v[150:151], v[14:15], v[174:175]
	v_fmac_f64_e32 v[150:151], v[12:13], v[172:173]
	v_mul_f64 v[12:13], v[12:13], v[174:175]
	v_fma_f64 v[130:131], v[14:15], v[172:173], -v[12:13]
	v_mul_f64 v[12:13], v[16:17], v[162:163]
	v_fma_f64 v[56:57], v[18:19], v[160:161], -v[12:13]
	s_waitcnt lgkmcnt(3)
	v_mul_f64 v[12:13], v[156:157], v[170:171]
	v_fma_f64 v[136:137], v[158:159], v[168:169], -v[12:13]
	v_add_f64 v[10:11], v[234:235], -v[164:165]
	v_add_f64 v[12:13], v[232:233], -v[236:237]
	;; [unrolled: 1-line block ×3, first 2 shown]
	v_add_f64 v[12:13], v[12:13], v[14:15]
	v_add_f64 v[14:15], v[166:167], -v[182:183]
	v_mul_f64 v[122:123], v[18:19], v[162:163]
	v_fmac_f64_e32 v[122:123], v[16:17], v[160:161]
	s_waitcnt vmcnt(6)
	v_mul_f64 v[116:117], v[62:63], v[90:91]
	s_waitcnt vmcnt(5)
	v_mul_f64 v[8:9], v[64:65], v[154:155]
	v_fma_f64 v[84:85], v[66:67], v[152:153], -v[8:9]
	v_mul_f64 v[8:9], v[60:61], v[90:91]
	v_fma_f64 v[108:109], v[62:63], v[88:89], -v[8:9]
	s_waitcnt vmcnt(3)
	v_mul_f64 v[8:9], v[52:53], v[254:255]
	v_fma_f64 v[86:87], v[54:55], v[252:253], -v[8:9]
	v_mul_f64 v[8:9], v[140:141], v[250:251]
	v_fma_f64 v[110:111], v[142:143], v[248:249], -v[8:9]
	s_waitcnt vmcnt(1)
	v_mul_f64 v[8:9], v[144:145], v[208:209]
	v_fmac_f64_e32 v[116:117], v[60:61], v[88:89]
	v_fma_f64 v[88:89], v[146:147], v[206:207], -v[8:9]
	s_waitcnt lgkmcnt(2)
	v_mul_f64 v[8:9], v[132:133], v[244:245]
	v_fma_f64 v[112:113], v[134:135], v[242:243], -v[8:9]
	s_waitcnt vmcnt(0) lgkmcnt(0)
	v_mul_f64 v[100:101], v[98:99], v[212:213]
	v_mul_f64 v[8:9], v[96:97], v[212:213]
	v_fmac_f64_e32 v[100:101], v[96:97], v[210:211]
	v_fma_f64 v[96:97], v[98:99], v[210:211], -v[8:9]
	v_add_f64 v[8:9], v[40:41], v[232:233]
	v_add_f64 v[8:9], v[8:9], v[236:237]
	;; [unrolled: 1-line block ×5, first 2 shown]
	v_fma_f64 v[30:31], -0.5, v[8:9], v[40:41]
	v_add_f64 v[8:9], v[230:231], -v[180:181]
	v_fma_f64 v[34:35], s[16:17], v[8:9], v[30:31]
	v_fmac_f64_e32 v[30:31], s[10:11], v[8:9]
	v_fmac_f64_e32 v[34:35], s[14:15], v[10:11]
	;; [unrolled: 1-line block ×5, first 2 shown]
	v_add_f64 v[12:13], v[232:233], v[182:183]
	v_fmac_f64_e32 v[40:41], -0.5, v[12:13]
	v_mul_f64 v[90:91], v[54:55], v[254:255]
	v_fma_f64 v[54:55], s[10:11], v[10:11], v[40:41]
	v_fmac_f64_e32 v[40:41], s[16:17], v[10:11]
	v_fmac_f64_e32 v[54:55], s[14:15], v[8:9]
	;; [unrolled: 1-line block ×3, first 2 shown]
	v_add_f64 v[8:9], v[42:43], v[230:231]
	v_add_f64 v[8:9], v[8:9], v[234:235]
	;; [unrolled: 1-line block ×3, first 2 shown]
	v_add_f64 v[12:13], v[236:237], -v[232:233]
	v_add_f64 v[46:47], v[8:9], v[180:181]
	v_add_f64 v[8:9], v[234:235], v[164:165]
	v_fmac_f64_e32 v[90:91], v[52:53], v[252:253]
	v_add_f64 v[12:13], v[12:13], v[14:15]
	v_fma_f64 v[52:53], -0.5, v[8:9], v[42:43]
	v_add_f64 v[8:9], v[232:233], -v[182:183]
	v_fmac_f64_e32 v[54:55], s[12:13], v[12:13]
	v_fmac_f64_e32 v[40:41], s[12:13], v[12:13]
	v_fma_f64 v[60:61], s[10:11], v[8:9], v[52:53]
	v_add_f64 v[10:11], v[236:237], -v[166:167]
	v_add_f64 v[12:13], v[230:231], -v[234:235]
	;; [unrolled: 1-line block ×3, first 2 shown]
	v_fmac_f64_e32 v[52:53], s[16:17], v[8:9]
	v_fmac_f64_e32 v[60:61], s[8:9], v[10:11]
	v_add_f64 v[12:13], v[12:13], v[14:15]
	v_fmac_f64_e32 v[52:53], s[14:15], v[10:11]
	v_fmac_f64_e32 v[60:61], s[12:13], v[12:13]
	;; [unrolled: 1-line block ×3, first 2 shown]
	v_add_f64 v[12:13], v[230:231], v[180:181]
	v_fmac_f64_e32 v[42:43], -0.5, v[12:13]
	v_fma_f64 v[62:63], s[16:17], v[10:11], v[42:43]
	v_fmac_f64_e32 v[42:43], s[10:11], v[10:11]
	v_fmac_f64_e32 v[62:63], s[8:9], v[8:9]
	;; [unrolled: 1-line block ×3, first 2 shown]
	v_add_f64 v[8:9], v[222:223], v[228:229]
	v_add_f64 v[8:9], v[8:9], v[26:27]
	v_mul_f64 v[92:93], v[66:67], v[154:155]
	v_add_f64 v[8:9], v[8:9], v[36:37]
	v_fmac_f64_e32 v[92:93], v[64:65], v[152:153]
	v_add_f64 v[12:13], v[234:235], -v[230:231]
	v_add_f64 v[14:15], v[164:165], -v[180:181]
	v_add_f64 v[64:65], v[8:9], v[44:45]
	v_add_f64 v[8:9], v[26:27], v[36:37]
	;; [unrolled: 1-line block ×3, first 2 shown]
	v_fma_f64 v[22:23], -0.5, v[8:9], v[222:223]
	v_add_f64 v[8:9], v[226:227], -v[32:33]
	v_fmac_f64_e32 v[62:63], s[12:13], v[12:13]
	v_fmac_f64_e32 v[42:43], s[12:13], v[12:13]
	v_fma_f64 v[10:11], s[16:17], v[8:9], v[22:23]
	v_add_f64 v[12:13], v[24:25], -v[38:39]
	v_add_f64 v[14:15], v[228:229], -v[26:27]
	;; [unrolled: 1-line block ×3, first 2 shown]
	v_fmac_f64_e32 v[22:23], s[10:11], v[8:9]
	v_fmac_f64_e32 v[10:11], s[14:15], v[12:13]
	v_add_f64 v[14:15], v[14:15], v[16:17]
	v_fmac_f64_e32 v[22:23], s[8:9], v[12:13]
	v_fmac_f64_e32 v[10:11], s[12:13], v[14:15]
	;; [unrolled: 1-line block ×3, first 2 shown]
	v_add_f64 v[14:15], v[228:229], v[44:45]
	v_mul_f64 v[114:115], v[70:71], v[194:195]
	v_fmac_f64_e32 v[222:223], -0.5, v[14:15]
	v_fmac_f64_e32 v[114:115], v[68:69], v[192:193]
	v_fma_f64 v[68:69], s[10:11], v[12:13], v[222:223]
	v_fmac_f64_e32 v[222:223], s[16:17], v[12:13]
	v_fmac_f64_e32 v[68:69], s[14:15], v[8:9]
	;; [unrolled: 1-line block ×3, first 2 shown]
	v_add_f64 v[8:9], v[224:225], v[226:227]
	v_add_f64 v[8:9], v[8:9], v[24:25]
	v_add_f64 v[8:9], v[8:9], v[38:39]
	v_add_f64 v[14:15], v[26:27], -v[228:229]
	v_add_f64 v[16:17], v[36:37], -v[44:45]
	v_add_f64 v[66:67], v[8:9], v[32:33]
	v_add_f64 v[8:9], v[24:25], v[38:39]
	;; [unrolled: 1-line block ×3, first 2 shown]
	v_fma_f64 v[70:71], -0.5, v[8:9], v[224:225]
	v_add_f64 v[8:9], v[228:229], -v[44:45]
	v_fmac_f64_e32 v[68:69], s[12:13], v[14:15]
	v_fmac_f64_e32 v[222:223], s[12:13], v[14:15]
	v_fma_f64 v[14:15], s[10:11], v[8:9], v[70:71]
	v_add_f64 v[12:13], v[26:27], -v[36:37]
	v_add_f64 v[16:17], v[226:227], -v[24:25]
	;; [unrolled: 1-line block ×3, first 2 shown]
	v_fmac_f64_e32 v[70:71], s[16:17], v[8:9]
	v_fmac_f64_e32 v[14:15], s[8:9], v[12:13]
	v_add_f64 v[16:17], v[16:17], v[18:19]
	v_fmac_f64_e32 v[70:71], s[14:15], v[12:13]
	v_fmac_f64_e32 v[14:15], s[12:13], v[16:17]
	;; [unrolled: 1-line block ×3, first 2 shown]
	v_add_f64 v[16:17], v[226:227], v[32:33]
	v_fmac_f64_e32 v[224:225], -0.5, v[16:17]
	v_fma_f64 v[26:27], s[16:17], v[12:13], v[224:225]
	v_add_f64 v[16:17], v[24:25], -v[226:227]
	v_add_f64 v[18:19], v[38:39], -v[32:33]
	v_fmac_f64_e32 v[26:27], s[8:9], v[8:9]
	v_add_f64 v[16:17], v[16:17], v[18:19]
	v_fmac_f64_e32 v[224:225], s[10:11], v[12:13]
	v_fmac_f64_e32 v[26:27], s[12:13], v[16:17]
	;; [unrolled: 1-line block ×3, first 2 shown]
	v_mul_f64 v[102:103], v[74:75], v[198:199]
	v_fmac_f64_e32 v[224:225], s[12:13], v[16:17]
	v_mul_f64 v[38:39], v[26:27], s[16:17]
	v_mul_f64 v[98:99], v[26:27], s[12:13]
	v_fmac_f64_e32 v[102:103], v[72:73], v[196:197]
	v_fmac_f64_e32 v[38:39], s[12:13], v[68:69]
	v_mul_f64 v[72:73], v[70:71], s[14:15]
	v_fmac_f64_e32 v[98:99], s[10:11], v[68:69]
	v_mul_f64 v[68:69], v[224:225], s[20:21]
	v_mul_f64 v[70:71], v[70:71], s[18:19]
	v_fmac_f64_e32 v[68:69], s[10:11], v[222:223]
	v_fmac_f64_e32 v[70:71], s[8:9], v[22:23]
	v_add_f64 v[16:17], v[28:29], v[64:65]
	v_add_f64 v[8:9], v[54:55], v[38:39]
	v_fmac_f64_e32 v[72:73], s[18:19], v[22:23]
	v_add_f64 v[18:19], v[46:47], v[66:67]
	v_add_f64 v[26:27], v[42:43], v[68:69]
	;; [unrolled: 1-line block ×3, first 2 shown]
	v_add_f64 v[36:37], v[28:29], -v[64:65]
	v_add_f64 v[28:29], v[54:55], -v[38:39]
	;; [unrolled: 1-line block ×5, first 2 shown]
	v_add_f64 v[52:53], v[4:5], v[138:139]
	v_mul_f64 v[160:161], v[158:159], v[170:171]
	v_add_f64 v[52:53], v[52:53], v[148:149]
	v_fmac_f64_e32 v[160:161], v[156:157], v[168:169]
	v_add_f64 v[52:53], v[52:53], v[150:151]
	v_mul_f64 v[32:33], v[14:15], s[14:15]
	v_mul_f64 v[44:45], v[224:225], s[16:17]
	;; [unrolled: 1-line block ×3, first 2 shown]
	v_add_f64 v[68:69], v[52:53], v[160:161]
	v_add_f64 v[52:53], v[148:149], v[150:151]
	v_fmac_f64_e32 v[32:33], s[22:23], v[10:11]
	v_fmac_f64_e32 v[44:45], s[20:21], v[222:223]
	;; [unrolled: 1-line block ×3, first 2 shown]
	v_fma_f64 v[70:71], -0.5, v[52:53], v[4:5]
	v_add_f64 v[52:53], v[126:127], -v[136:137]
	v_add_f64 v[12:13], v[34:35], v[32:33]
	v_add_f64 v[24:25], v[40:41], v[44:45]
	;; [unrolled: 1-line block ×5, first 2 shown]
	v_add_f64 v[32:33], v[34:35], -v[32:33]
	v_add_f64 v[44:45], v[40:41], -v[44:45]
	v_add_f64 v[40:41], v[30:31], -v[72:73]
	v_add_f64 v[34:35], v[60:61], -v[74:75]
	v_add_f64 v[30:31], v[62:63], -v[98:99]
	v_fma_f64 v[72:73], s[16:17], v[52:53], v[70:71]
	v_add_f64 v[54:55], v[128:129], -v[130:131]
	v_add_f64 v[60:61], v[138:139], -v[148:149]
	;; [unrolled: 1-line block ×3, first 2 shown]
	v_fmac_f64_e32 v[70:71], s[10:11], v[52:53]
	v_fmac_f64_e32 v[72:73], s[14:15], v[54:55]
	v_add_f64 v[60:61], v[60:61], v[62:63]
	v_fmac_f64_e32 v[70:71], s[8:9], v[54:55]
	v_fmac_f64_e32 v[72:73], s[12:13], v[60:61]
	;; [unrolled: 1-line block ×3, first 2 shown]
	v_add_f64 v[60:61], v[138:139], v[160:161]
	v_mul_f64 v[120:121], v[134:135], v[244:245]
	v_fmac_f64_e32 v[4:5], -0.5, v[60:61]
	v_fmac_f64_e32 v[120:121], v[132:133], v[242:243]
	v_fma_f64 v[132:133], s[10:11], v[54:55], v[4:5]
	v_fmac_f64_e32 v[4:5], s[16:17], v[54:55]
	v_fmac_f64_e32 v[132:133], s[14:15], v[52:53]
	;; [unrolled: 1-line block ×3, first 2 shown]
	v_add_f64 v[52:53], v[6:7], v[126:127]
	v_add_f64 v[52:53], v[52:53], v[128:129]
	;; [unrolled: 1-line block ×3, first 2 shown]
	v_add_f64 v[60:61], v[148:149], -v[138:139]
	v_add_f64 v[62:63], v[150:151], -v[160:161]
	v_add_f64 v[74:75], v[52:53], v[136:137]
	v_add_f64 v[52:53], v[128:129], v[130:131]
	;; [unrolled: 1-line block ×3, first 2 shown]
	v_fma_f64 v[98:99], -0.5, v[52:53], v[6:7]
	v_add_f64 v[52:53], v[138:139], -v[160:161]
	v_fmac_f64_e32 v[132:133], s[12:13], v[60:61]
	v_fmac_f64_e32 v[4:5], s[12:13], v[60:61]
	v_fma_f64 v[134:135], s[10:11], v[52:53], v[98:99]
	v_add_f64 v[54:55], v[148:149], -v[150:151]
	v_add_f64 v[60:61], v[126:127], -v[128:129]
	;; [unrolled: 1-line block ×3, first 2 shown]
	v_fmac_f64_e32 v[98:99], s[16:17], v[52:53]
	v_fmac_f64_e32 v[134:135], s[8:9], v[54:55]
	v_add_f64 v[60:61], v[60:61], v[62:63]
	v_fmac_f64_e32 v[98:99], s[14:15], v[54:55]
	v_fmac_f64_e32 v[134:135], s[12:13], v[60:61]
	;; [unrolled: 1-line block ×3, first 2 shown]
	v_add_f64 v[60:61], v[126:127], v[136:137]
	v_fmac_f64_e32 v[6:7], -0.5, v[60:61]
	v_fma_f64 v[138:139], s[16:17], v[54:55], v[6:7]
	v_fmac_f64_e32 v[6:7], s[10:11], v[54:55]
	v_fmac_f64_e32 v[138:139], s[8:9], v[52:53]
	;; [unrolled: 1-line block ×3, first 2 shown]
	v_add_f64 v[52:53], v[76:77], v[80:81]
	v_add_f64 v[52:53], v[52:53], v[82:83]
	;; [unrolled: 1-line block ×3, first 2 shown]
	v_add_f64 v[60:61], v[128:129], -v[126:127]
	v_add_f64 v[62:63], v[130:131], -v[136:137]
	v_add_f64 v[126:127], v[52:53], v[124:125]
	v_add_f64 v[52:53], v[82:83], v[122:123]
	;; [unrolled: 1-line block ×3, first 2 shown]
	v_fma_f64 v[62:63], -0.5, v[52:53], v[76:77]
	v_add_f64 v[52:53], v[48:49], -v[58:59]
	v_fmac_f64_e32 v[138:139], s[12:13], v[60:61]
	v_fmac_f64_e32 v[6:7], s[12:13], v[60:61]
	v_fma_f64 v[54:55], s[16:17], v[52:53], v[62:63]
	v_add_f64 v[60:61], v[50:51], -v[56:57]
	v_add_f64 v[64:65], v[80:81], -v[82:83]
	;; [unrolled: 1-line block ×3, first 2 shown]
	v_fmac_f64_e32 v[62:63], s[10:11], v[52:53]
	v_fmac_f64_e32 v[54:55], s[14:15], v[60:61]
	v_add_f64 v[64:65], v[64:65], v[66:67]
	v_fmac_f64_e32 v[62:63], s[8:9], v[60:61]
	v_fmac_f64_e32 v[54:55], s[12:13], v[64:65]
	;; [unrolled: 1-line block ×3, first 2 shown]
	v_add_f64 v[64:65], v[80:81], v[124:125]
	v_fmac_f64_e32 v[76:77], -0.5, v[64:65]
	v_fma_f64 v[66:67], s[10:11], v[60:61], v[76:77]
	v_fmac_f64_e32 v[76:77], s[16:17], v[60:61]
	v_fmac_f64_e32 v[66:67], s[14:15], v[52:53]
	;; [unrolled: 1-line block ×3, first 2 shown]
	v_add_f64 v[52:53], v[78:79], v[48:49]
	v_add_f64 v[52:53], v[52:53], v[50:51]
	v_add_f64 v[64:65], v[82:83], -v[80:81]
	v_add_f64 v[128:129], v[122:123], -v[124:125]
	v_add_f64 v[52:53], v[52:53], v[56:57]
	v_add_f64 v[64:65], v[64:65], v[128:129]
	;; [unrolled: 1-line block ×4, first 2 shown]
	v_fma_f64 v[130:131], -0.5, v[52:53], v[78:79]
	v_add_f64 v[52:53], v[80:81], -v[124:125]
	v_fmac_f64_e32 v[66:67], s[12:13], v[64:65]
	v_fmac_f64_e32 v[76:77], s[12:13], v[64:65]
	v_fma_f64 v[80:81], s[10:11], v[52:53], v[130:131]
	v_add_f64 v[60:61], v[82:83], -v[122:123]
	v_add_f64 v[64:65], v[48:49], -v[50:51]
	;; [unrolled: 1-line block ×3, first 2 shown]
	v_fmac_f64_e32 v[130:131], s[16:17], v[52:53]
	v_fmac_f64_e32 v[80:81], s[8:9], v[60:61]
	v_add_f64 v[64:65], v[64:65], v[82:83]
	v_fmac_f64_e32 v[130:131], s[14:15], v[60:61]
	v_fmac_f64_e32 v[80:81], s[12:13], v[64:65]
	;; [unrolled: 1-line block ×3, first 2 shown]
	v_add_f64 v[64:65], v[48:49], v[58:59]
	v_fmac_f64_e32 v[78:79], -0.5, v[64:65]
	v_fma_f64 v[82:83], s[16:17], v[60:61], v[78:79]
	v_add_f64 v[48:49], v[50:51], -v[48:49]
	v_add_f64 v[50:51], v[56:57], -v[58:59]
	v_fmac_f64_e32 v[78:79], s[10:11], v[60:61]
	v_fmac_f64_e32 v[82:83], s[8:9], v[52:53]
	v_add_f64 v[48:49], v[48:49], v[50:51]
	v_fmac_f64_e32 v[78:79], s[14:15], v[52:53]
	v_mul_f64 v[118:119], v[142:143], v[250:251]
	v_mul_f64 v[94:95], v[146:147], v[208:209]
	v_fmac_f64_e32 v[82:83], s[12:13], v[48:49]
	v_fmac_f64_e32 v[78:79], s[12:13], v[48:49]
	;; [unrolled: 1-line block ×4, first 2 shown]
	v_mul_f64 v[124:125], v[82:83], s[16:17]
	v_mul_f64 v[136:137], v[78:79], s[16:17]
	;; [unrolled: 1-line block ×6, first 2 shown]
	v_fmac_f64_e32 v[136:137], s[20:21], v[76:77]
	v_fmac_f64_e32 v[140:141], s[18:19], v[62:63]
	;; [unrolled: 1-line block ×5, first 2 shown]
	v_mul_f64 v[122:123], v[80:81], s[14:15]
	v_fmac_f64_e32 v[124:125], s[12:13], v[66:67]
	v_add_f64 v[64:65], v[4:5], v[136:137]
	v_add_f64 v[60:61], v[70:71], v[140:141]
	v_mul_f64 v[142:143], v[80:81], s[22:23]
	v_add_f64 v[50:51], v[138:139], v[82:83]
	v_add_f64 v[66:67], v[6:7], v[144:145]
	;; [unrolled: 1-line block ×3, first 2 shown]
	v_add_f64 v[80:81], v[4:5], -v[136:137]
	v_add_f64 v[4:5], v[70:71], -v[140:141]
	v_add_f64 v[70:71], v[138:139], -v[82:83]
	v_add_f64 v[82:83], v[6:7], -v[144:145]
	v_add_f64 v[6:7], v[98:99], -v[130:131]
	v_add_f64 v[98:99], v[0:1], v[114:115]
	v_add_f64 v[98:99], v[98:99], v[116:117]
	;; [unrolled: 1-line block ×4, first 2 shown]
	v_add_f64 v[76:77], v[68:69], -v[126:127]
	v_add_f64 v[126:127], v[98:99], v[120:121]
	v_add_f64 v[98:99], v[116:117], v[118:119]
	v_fmac_f64_e32 v[122:123], s[22:23], v[54:55]
	v_add_f64 v[48:49], v[132:133], v[124:125]
	v_add_f64 v[68:69], v[132:133], -v[124:125]
	v_fma_f64 v[124:125], -0.5, v[98:99], v[0:1]
	v_add_f64 v[98:99], v[106:107], -v[112:113]
	v_add_f64 v[52:53], v[72:73], v[122:123]
	v_add_f64 v[58:59], v[74:75], v[128:129]
	v_add_f64 v[72:73], v[72:73], -v[122:123]
	v_add_f64 v[78:79], v[74:75], -v[128:129]
	v_fma_f64 v[128:129], s[16:17], v[98:99], v[124:125]
	v_add_f64 v[122:123], v[108:109], -v[110:111]
	v_add_f64 v[130:131], v[114:115], -v[116:117]
	v_add_f64 v[132:133], v[120:121], -v[118:119]
	v_fmac_f64_e32 v[124:125], s[10:11], v[98:99]
	v_fmac_f64_e32 v[128:129], s[14:15], v[122:123]
	v_add_f64 v[130:131], v[130:131], v[132:133]
	v_fmac_f64_e32 v[124:125], s[8:9], v[122:123]
	v_fmac_f64_e32 v[128:129], s[12:13], v[130:131]
	;; [unrolled: 1-line block ×3, first 2 shown]
	v_add_f64 v[130:131], v[114:115], v[120:121]
	v_fmac_f64_e32 v[0:1], -0.5, v[130:131]
	v_fma_f64 v[132:133], s[10:11], v[122:123], v[0:1]
	v_fmac_f64_e32 v[0:1], s[16:17], v[122:123]
	v_fmac_f64_e32 v[142:143], s[8:9], v[54:55]
	;; [unrolled: 1-line block ×4, first 2 shown]
	v_add_f64 v[98:99], v[2:3], v[106:107]
	v_add_f64 v[54:55], v[134:135], v[142:143]
	v_add_f64 v[74:75], v[134:135], -v[142:143]
	v_add_f64 v[130:131], v[116:117], -v[114:115]
	;; [unrolled: 1-line block ×3, first 2 shown]
	v_add_f64 v[98:99], v[98:99], v[108:109]
	v_add_f64 v[130:131], v[130:131], v[134:135]
	;; [unrolled: 1-line block ×3, first 2 shown]
	v_fmac_f64_e32 v[132:133], s[12:13], v[130:131]
	v_fmac_f64_e32 v[0:1], s[12:13], v[130:131]
	v_add_f64 v[130:131], v[98:99], v[112:113]
	v_add_f64 v[98:99], v[108:109], v[110:111]
	v_fma_f64 v[122:123], -0.5, v[98:99], v[2:3]
	v_add_f64 v[98:99], v[114:115], -v[120:121]
	v_fma_f64 v[120:121], s[10:11], v[98:99], v[122:123]
	v_add_f64 v[114:115], v[116:117], -v[118:119]
	v_add_f64 v[116:117], v[106:107], -v[108:109]
	v_add_f64 v[118:119], v[112:113], -v[110:111]
	v_fmac_f64_e32 v[122:123], s[16:17], v[98:99]
	v_fmac_f64_e32 v[120:121], s[8:9], v[114:115]
	v_add_f64 v[116:117], v[116:117], v[118:119]
	v_fmac_f64_e32 v[122:123], s[14:15], v[114:115]
	v_fmac_f64_e32 v[120:121], s[12:13], v[116:117]
	;; [unrolled: 1-line block ×3, first 2 shown]
	v_add_f64 v[116:117], v[106:107], v[112:113]
	v_fmac_f64_e32 v[2:3], -0.5, v[116:117]
	v_fma_f64 v[118:119], s[16:17], v[114:115], v[2:3]
	v_fmac_f64_e32 v[2:3], s[10:11], v[114:115]
	v_fmac_f64_e32 v[118:119], s[8:9], v[98:99]
	;; [unrolled: 1-line block ×3, first 2 shown]
	v_add_f64 v[98:99], v[102:103], v[92:93]
	v_add_f64 v[106:107], v[108:109], -v[106:107]
	v_add_f64 v[108:109], v[110:111], -v[112:113]
	v_add_f64 v[98:99], v[98:99], v[90:91]
	v_add_f64 v[106:107], v[106:107], v[108:109]
	;; [unrolled: 1-line block ×3, first 2 shown]
	v_fmac_f64_e32 v[118:119], s[12:13], v[106:107]
	v_fmac_f64_e32 v[2:3], s[12:13], v[106:107]
	v_add_f64 v[106:107], v[98:99], v[100:101]
	v_add_f64 v[98:99], v[90:91], v[94:95]
	v_fma_f64 v[98:99], -0.5, v[98:99], v[102:103]
	v_add_f64 v[108:109], v[84:85], -v[96:97]
	v_fma_f64 v[110:111], s[16:17], v[108:109], v[98:99]
	v_add_f64 v[112:113], v[86:87], -v[88:89]
	v_add_f64 v[114:115], v[92:93], -v[90:91]
	;; [unrolled: 1-line block ×3, first 2 shown]
	v_fmac_f64_e32 v[98:99], s[10:11], v[108:109]
	v_fmac_f64_e32 v[110:111], s[14:15], v[112:113]
	v_add_f64 v[114:115], v[114:115], v[116:117]
	v_fmac_f64_e32 v[98:99], s[8:9], v[112:113]
	v_fmac_f64_e32 v[110:111], s[12:13], v[114:115]
	;; [unrolled: 1-line block ×3, first 2 shown]
	v_add_f64 v[114:115], v[92:93], v[100:101]
	v_fmac_f64_e32 v[102:103], -0.5, v[114:115]
	v_fma_f64 v[114:115], s[10:11], v[112:113], v[102:103]
	v_fmac_f64_e32 v[102:103], s[16:17], v[112:113]
	v_fmac_f64_e32 v[114:115], s[14:15], v[108:109]
	;; [unrolled: 1-line block ×3, first 2 shown]
	v_add_f64 v[108:109], v[104:105], v[84:85]
	v_add_f64 v[108:109], v[108:109], v[86:87]
	;; [unrolled: 1-line block ×5, first 2 shown]
	v_add_f64 v[116:117], v[90:91], -v[92:93]
	v_fma_f64 v[108:109], -0.5, v[108:109], v[104:105]
	v_add_f64 v[92:93], v[92:93], -v[100:101]
	v_add_f64 v[134:135], v[94:95], -v[100:101]
	v_fma_f64 v[112:113], s[10:11], v[92:93], v[108:109]
	v_add_f64 v[90:91], v[90:91], -v[94:95]
	v_add_f64 v[94:95], v[84:85], -v[86:87]
	v_add_f64 v[100:101], v[96:97], -v[88:89]
	v_fmac_f64_e32 v[112:113], s[8:9], v[90:91]
	v_add_f64 v[94:95], v[94:95], v[100:101]
	v_fmac_f64_e32 v[108:109], s[16:17], v[92:93]
	v_fmac_f64_e32 v[112:113], s[12:13], v[94:95]
	;; [unrolled: 1-line block ×4, first 2 shown]
	v_add_f64 v[94:95], v[84:85], v[96:97]
	v_mul_f64 v[146:147], v[112:113], s[22:23]
	v_add_f64 v[116:117], v[116:117], v[134:135]
	v_fmac_f64_e32 v[104:105], -0.5, v[94:95]
	v_mul_f64 v[138:139], v[112:113], s[14:15]
	v_fmac_f64_e32 v[146:147], s[8:9], v[110:111]
	v_mov_b32_e32 v242, 4
	v_fmac_f64_e32 v[114:115], s[12:13], v[116:117]
	v_fmac_f64_e32 v[102:103], s[12:13], v[116:117]
	v_fma_f64 v[116:117], s[16:17], v[90:91], v[104:105]
	v_add_f64 v[84:85], v[86:87], -v[84:85]
	v_add_f64 v[86:87], v[88:89], -v[96:97]
	v_fmac_f64_e32 v[104:105], s[10:11], v[90:91]
	v_fmac_f64_e32 v[138:139], s[22:23], v[110:111]
	v_add_f64 v[90:91], v[120:121], v[146:147]
	v_add_f64 v[110:111], v[120:121], -v[146:147]
	v_mul_u32_u24_e32 v120, 0x1e0, v238
	v_lshlrev_b32_sdwa v121, v242, v239 dst_sel:DWORD dst_unused:UNUSED_PAD src0_sel:DWORD src1_sel:BYTE_0
	v_add_f64 v[84:85], v[84:85], v[86:87]
	v_fmac_f64_e32 v[104:105], s[14:15], v[92:93]
	v_add3_u32 v120, 0, v120, v121
	v_fmac_f64_e32 v[116:117], s[8:9], v[92:93]
	v_fmac_f64_e32 v[104:105], s[12:13], v[84:85]
	s_barrier
	ds_write_b128 v120, v[16:19]
	ds_write_b128 v120, v[12:15] offset:48
	ds_write_b128 v120, v[8:11] offset:96
	;; [unrolled: 1-line block ×9, first 2 shown]
	v_mul_u32_u24_e32 v8, 0x1e0, v203
	v_lshlrev_b32_sdwa v9, v242, v201 dst_sel:DWORD dst_unused:UNUSED_PAD src0_sel:DWORD src1_sel:BYTE_0
	v_fmac_f64_e32 v[116:117], s[12:13], v[84:85]
	v_mul_f64 v[142:143], v[104:105], s[16:17]
	v_mul_f64 v[144:145], v[108:109], s[14:15]
	v_add3_u32 v8, 0, v8, v9
	v_mul_f64 v[140:141], v[116:117], s[16:17]
	v_fmac_f64_e32 v[142:143], s[20:21], v[102:103]
	v_fmac_f64_e32 v[144:145], s[18:19], v[98:99]
	v_mul_f64 v[148:149], v[116:117], s[12:13]
	v_mul_f64 v[150:151], v[104:105], s[20:21]
	;; [unrolled: 1-line block ×3, first 2 shown]
	ds_write_b128 v8, v[56:59]
	ds_write_b128 v8, v[52:55] offset:48
	ds_write_b128 v8, v[48:51] offset:96
	;; [unrolled: 1-line block ×9, first 2 shown]
	v_mul_u32_u24_e32 v4, 0x1e0, v205
	v_lshlrev_b32_e32 v5, 4, v215
	v_add_f64 v[92:93], v[126:127], v[106:107]
	v_fmac_f64_e32 v[140:141], s[12:13], v[114:115]
	v_add_f64 v[100:101], v[0:1], v[142:143]
	v_add_f64 v[94:95], v[130:131], v[136:137]
	v_fmac_f64_e32 v[148:149], s[10:11], v[114:115]
	v_fmac_f64_e32 v[150:151], s[10:11], v[102:103]
	;; [unrolled: 1-line block ×3, first 2 shown]
	v_add_f64 v[116:117], v[0:1], -v[142:143]
	v_add_f64 v[0:1], v[124:125], -v[144:145]
	v_add3_u32 v4, 0, v4, v5
	v_add_f64 v[88:89], v[128:129], v[138:139]
	v_add_f64 v[84:85], v[132:133], v[140:141]
	;; [unrolled: 1-line block ×6, first 2 shown]
	v_add_f64 v[112:113], v[126:127], -v[106:107]
	v_add_f64 v[108:109], v[128:129], -v[138:139]
	;; [unrolled: 1-line block ×7, first 2 shown]
	ds_write_b128 v4, v[92:95]
	ds_write_b128 v4, v[88:91] offset:48
	ds_write_b128 v4, v[84:87] offset:96
	;; [unrolled: 1-line block ×9, first 2 shown]
	v_mul_lo_u16_sdwa v0, v200, s24 dst_sel:DWORD dst_unused:UNUSED_PAD src0_sel:BYTE_0 src1_sel:DWORD
	v_lshrrev_b16_e32 v243, 12, v0
	v_mul_lo_u16_e32 v0, 30, v243
	v_sub_u16_e32 v244, v200, v0
	v_mul_u32_u24_sdwa v0, v244, v221 dst_sel:DWORD dst_unused:UNUSED_PAD src0_sel:BYTE_0 src1_sel:DWORD
	v_lshlrev_b32_e32 v0, 4, v0
	s_waitcnt lgkmcnt(0)
	s_barrier
	global_load_dwordx4 v[128:131], v0, s[4:5] offset:432
	global_load_dwordx4 v[124:127], v0, s[4:5] offset:448
	global_load_dwordx4 v[120:123], v0, s[4:5] offset:464
	global_load_dwordx4 v[36:39], v0, s[4:5] offset:480
	global_load_dwordx4 v[68:71], v0, s[4:5] offset:496
	global_load_dwordx4 v[64:67], v0, s[4:5] offset:512
	v_mul_lo_u16_sdwa v1, v204, s24 dst_sel:DWORD dst_unused:UNUSED_PAD src0_sel:BYTE_0 src1_sel:DWORD
	v_lshrrev_b16_e32 v201, 12, v1
	v_mul_lo_u16_e32 v1, 30, v201
	s_mov_b32 s24, 0x8889
	ds_read_b128 v[168:171], v241
	ds_read_b128 v[164:167], v219
	v_mov_b32_e32 v215, v219
	v_accvgpr_read_b32 v219, a8
	v_sub_u16_e32 v245, v204, v1
	v_mul_u32_u24_sdwa v192, v220, s24 dst_sel:DWORD dst_unused:UNUSED_PAD src0_sel:WORD_0 src1_sel:DWORD
	ds_read_b128 v[80:83], v240 offset:17280
	ds_read_b128 v[20:23], v240 offset:18720
	;; [unrolled: 1-line block ×4, first 2 shown]
	global_load_dwordx4 v[28:31], v0, s[4:5] offset:544
	global_load_dwordx4 v[32:35], v0, s[4:5] offset:528
	ds_read_b128 v[172:175], v219
	ds_read_b128 v[16:19], v240 offset:31680
	ds_read_b128 v[24:27], v240 offset:38880
	;; [unrolled: 1-line block ×3, first 2 shown]
	global_load_dwordx4 v[72:75], v0, s[4:5] offset:560
	v_mul_u32_u24_sdwa v0, v245, v221 dst_sel:DWORD dst_unused:UNUSED_PAD src0_sel:BYTE_0 src1_sel:DWORD
	v_lshrrev_b32_e32 v221, 20, v192
	v_mul_lo_u16_e32 v192, 30, v221
	v_lshlrev_b32_e32 v188, 4, v0
	v_sub_u16_e32 v203, v220, v192
	global_load_dwordx4 v[96:99], v188, s[4:5] offset:432
	ds_read_b128 v[4:7], v247
	ds_read_b128 v[0:3], v217
	global_load_dwordx4 v[84:87], v188, s[4:5] offset:464
	global_load_dwordx4 v[92:95], v188, s[4:5] offset:448
	ds_read_b128 v[112:115], v240 offset:5760
	ds_read_b128 v[60:63], v240 offset:7200
	;; [unrolled: 1-line block ×8, first 2 shown]
	global_load_dwordx4 v[104:107], v188, s[4:5] offset:480
	ds_read_b128 v[88:91], v240 offset:23040
	ds_read_b128 v[44:47], v240 offset:24480
	global_load_dwordx4 v[160:163], v188, s[4:5] offset:496
	ds_read_b128 v[180:183], v240 offset:30240
	ds_read_b128 v[136:139], v240 offset:28800
	global_load_dwordx4 v[148:151], v188, s[4:5] offset:528
	global_load_dwordx4 v[156:159], v188, s[4:5] offset:512
	ds_read_b128 v[184:187], v240 offset:34560
	ds_read_b128 v[140:143], v240 offset:33120
	;; [unrolled: 1-line block ×4, first 2 shown]
	ds_read_b128 v[40:43], v240
	ds_read_b128 v[116:119], v240 offset:41760
	global_load_dwordx4 v[152:155], v188, s[4:5] offset:544
	s_nop 0
	global_load_dwordx4 v[188:191], v188, s[4:5] offset:560
	v_mul_u32_u24_e32 v192, 9, v203
	v_lshlrev_b32_e32 v205, 4, v192
	global_load_dwordx4 v[192:195], v205, s[4:5] offset:448
	global_load_dwordx4 v[196:199], v205, s[4:5] offset:432
	s_waitcnt vmcnt(19) lgkmcnt(14)
	v_mul_f64 v[222:223], v[174:175], v[130:131]
	v_mul_f64 v[130:131], v[172:173], v[130:131]
	v_fmac_f64_e32 v[222:223], v[172:173], v[128:129]
	v_fma_f64 v[224:225], v[174:175], v[128:129], -v[130:131]
	global_load_dwordx4 v[128:131], v205, s[4:5] offset:480
	global_load_dwordx4 v[172:175], v205, s[4:5] offset:464
	s_waitcnt vmcnt(20)
	v_mul_f64 v[230:231], v[170:171], v[126:127]
	v_mul_f64 v[126:127], v[168:169], v[126:127]
	s_waitcnt vmcnt(19)
	v_mul_f64 v[226:227], v[166:167], v[122:123]
	v_mul_f64 v[122:123], v[164:165], v[122:123]
	v_fma_f64 v[228:229], v[170:171], v[124:125], -v[126:127]
	v_fmac_f64_e32 v[226:227], v[164:165], v[120:121]
	v_fma_f64 v[170:171], v[166:167], v[120:121], -v[122:123]
	global_load_dwordx4 v[120:123], v205, s[4:5] offset:512
	global_load_dwordx4 v[206:209], v205, s[4:5] offset:496
	;; [unrolled: 1-line block ×5, first 2 shown]
	s_waitcnt vmcnt(23)
	v_mul_f64 v[236:237], v[82:83], v[38:39]
	v_mul_f64 v[38:39], v[80:81], v[38:39]
	v_fmac_f64_e32 v[236:237], v[80:81], v[36:37]
	v_fma_f64 v[232:233], v[82:83], v[36:37], -v[38:39]
	s_waitcnt vmcnt(22) lgkmcnt(11)
	v_mul_f64 v[36:37], v[176:177], v[70:71]
	v_mul_f64 v[38:39], v[178:179], v[70:71]
	v_fma_f64 v[36:37], v[178:179], v[68:69], -v[36:37]
	s_waitcnt vmcnt(18)
	v_mul_f64 v[178:179], v[26:27], v[74:75]
	v_fmac_f64_e32 v[178:179], v[24:25], v[72:73]
	v_mul_f64 v[24:25], v[24:25], v[74:75]
	v_fma_f64 v[24:25], v[26:27], v[72:73], -v[24:25]
	s_waitcnt vmcnt(17)
	v_mul_f64 v[26:27], v[112:113], v[98:99]
	v_fmac_f64_e32 v[38:39], v[176:177], v[68:69]
	v_fma_f64 v[68:69], v[114:115], v[96:97], -v[26:27]
	s_waitcnt vmcnt(15)
	v_mul_f64 v[26:27], v[108:109], v[94:95]
	v_fmac_f64_e32 v[230:231], v[168:169], v[124:125]
	v_mul_f64 v[238:239], v[78:79], v[66:67]
	v_mul_f64 v[66:67], v[76:77], v[66:67]
	v_fma_f64 v[126:127], v[110:111], v[92:93], -v[26:27]
	s_waitcnt vmcnt(9)
	v_mul_f64 v[82:83], v[10:11], v[190:191]
	v_fmac_f64_e32 v[82:83], v[8:9], v[188:189]
	v_mul_f64 v[8:9], v[8:9], v[190:191]
	v_mul_f64 v[26:27], v[100:101], v[86:87]
	;; [unrolled: 1-line block ×3, first 2 shown]
	v_fma_f64 v[74:75], v[10:11], v[188:189], -v[8:9]
	s_waitcnt vmcnt(7)
	v_mul_f64 v[8:9], v[60:61], v[198:199]
	v_fmac_f64_e32 v[238:239], v[76:77], v[64:65]
	v_fma_f64 v[234:235], v[78:79], v[64:65], -v[66:67]
	v_mul_f64 v[76:77], v[102:103], v[86:87]
	v_fma_f64 v[64:65], v[102:103], v[84:85], -v[26:27]
	v_fmac_f64_e32 v[168:169], v[20:21], v[104:105]
	v_mul_f64 v[20:21], v[20:21], v[106:107]
	v_fma_f64 v[102:103], v[62:63], v[196:197], -v[8:9]
	v_mul_f64 v[8:9], v[56:57], v[194:195]
	v_fma_f64 v[164:165], v[22:23], v[104:105], -v[20:21]
	v_fma_f64 v[104:105], v[58:59], v[192:193], -v[8:9]
	v_fmac_f64_e32 v[76:77], v[100:101], v[84:85]
	v_mul_f64 v[166:167], v[110:111], v[94:95]
	v_fmac_f64_e32 v[166:167], v[108:109], v[92:93]
	s_waitcnt lgkmcnt(9)
	v_mul_f64 v[78:79], v[90:91], v[162:163]
	v_fmac_f64_e32 v[78:79], v[88:89], v[160:161]
	v_mul_f64 v[20:21], v[88:89], v[162:163]
	v_mul_f64 v[66:67], v[114:115], v[98:99]
	s_waitcnt lgkmcnt(7)
	v_mul_f64 v[176:177], v[182:183], v[34:35]
	v_mul_f64 v[34:35], v[180:181], v[34:35]
	v_fmac_f64_e32 v[66:67], v[112:113], v[96:97]
	v_fmac_f64_e32 v[176:177], v[180:181], v[32:33]
	v_fma_f64 v[32:33], v[182:183], v[32:33], -v[34:35]
	s_waitcnt lgkmcnt(5)
	v_mul_f64 v[182:183], v[186:187], v[30:31]
	v_fma_f64 v[70:71], v[90:91], v[160:161], -v[20:21]
	v_mul_f64 v[160:161], v[14:15], v[158:159]
	v_fmac_f64_e32 v[182:183], v[184:185], v[28:29]
	v_mul_f64 v[30:31], v[184:185], v[30:31]
	v_fmac_f64_e32 v[160:161], v[12:13], v[156:157]
	v_mul_f64 v[12:13], v[12:13], v[158:159]
	v_fma_f64 v[180:181], v[186:187], v[28:29], -v[30:31]
	v_fma_f64 v[156:157], v[14:15], v[156:157], -v[12:13]
	v_mul_f64 v[80:81], v[18:19], v[150:151]
	v_mul_f64 v[12:13], v[16:17], v[150:151]
	v_fmac_f64_e32 v[80:81], v[16:17], v[148:149]
	v_fma_f64 v[72:73], v[18:19], v[148:149], -v[12:13]
	s_waitcnt lgkmcnt(3)
	v_mul_f64 v[148:149], v[146:147], v[154:155]
	v_mul_f64 v[12:13], v[144:145], v[154:155]
	v_fmac_f64_e32 v[148:149], v[144:145], v[152:153]
	v_fma_f64 v[144:145], v[146:147], v[152:153], -v[12:13]
	v_add_f64 v[10:11], v[232:233], -v[234:235]
	v_add_f64 v[12:13], v[230:231], -v[236:237]
	;; [unrolled: 1-line block ×3, first 2 shown]
	v_add_f64 v[12:13], v[12:13], v[14:15]
	s_waitcnt vmcnt(5)
	v_mul_f64 v[8:9], v[52:53], v[174:175]
	v_fma_f64 v[84:85], v[54:55], v[172:173], -v[8:9]
	v_mul_f64 v[8:9], v[48:49], v[130:131]
	v_fma_f64 v[106:107], v[50:51], v[128:129], -v[8:9]
	v_mul_f64 v[114:115], v[50:51], v[130:131]
	v_add_f64 v[14:15], v[238:239], -v[182:183]
	v_fmac_f64_e32 v[114:115], v[48:49], v[128:129]
	v_mul_f64 v[90:91], v[54:55], v[174:175]
	s_waitcnt vmcnt(3)
	v_mul_f64 v[8:9], v[44:45], v[208:209]
	v_fma_f64 v[86:87], v[46:47], v[206:207], -v[8:9]
	v_mul_f64 v[8:9], v[136:137], v[122:123]
	v_fma_f64 v[108:109], v[138:139], v[120:121], -v[8:9]
	s_waitcnt vmcnt(1)
	v_mul_f64 v[8:9], v[140:141], v[250:251]
	v_fma_f64 v[88:89], v[142:143], v[248:249], -v[8:9]
	s_waitcnt lgkmcnt(2)
	v_mul_f64 v[8:9], v[132:133], v[212:213]
	v_fma_f64 v[110:111], v[134:135], v[210:211], -v[8:9]
	s_waitcnt vmcnt(0) lgkmcnt(0)
	v_mul_f64 v[8:9], v[116:117], v[254:255]
	v_fma_f64 v[96:97], v[118:119], v[252:253], -v[8:9]
	v_add_f64 v[8:9], v[40:41], v[230:231]
	v_add_f64 v[8:9], v[8:9], v[236:237]
	;; [unrolled: 1-line block ×5, first 2 shown]
	v_fma_f64 v[30:31], -0.5, v[8:9], v[40:41]
	v_add_f64 v[8:9], v[228:229], -v[180:181]
	v_fma_f64 v[34:35], s[16:17], v[8:9], v[30:31]
	v_fmac_f64_e32 v[30:31], s[10:11], v[8:9]
	v_fmac_f64_e32 v[34:35], s[14:15], v[10:11]
	;; [unrolled: 1-line block ×5, first 2 shown]
	v_add_f64 v[12:13], v[230:231], v[182:183]
	v_mul_f64 v[92:93], v[46:47], v[208:209]
	v_fmac_f64_e32 v[40:41], -0.5, v[12:13]
	v_fmac_f64_e32 v[92:93], v[44:45], v[206:207]
	v_fma_f64 v[44:45], s[10:11], v[10:11], v[40:41]
	v_fmac_f64_e32 v[40:41], s[16:17], v[10:11]
	v_fmac_f64_e32 v[44:45], s[14:15], v[8:9]
	;; [unrolled: 1-line block ×3, first 2 shown]
	v_add_f64 v[8:9], v[42:43], v[228:229]
	v_add_f64 v[8:9], v[8:9], v[232:233]
	;; [unrolled: 1-line block ×3, first 2 shown]
	v_add_f64 v[12:13], v[236:237], -v[230:231]
	v_add_f64 v[46:47], v[8:9], v[180:181]
	v_add_f64 v[8:9], v[232:233], v[234:235]
	;; [unrolled: 1-line block ×3, first 2 shown]
	v_fma_f64 v[48:49], -0.5, v[8:9], v[42:43]
	v_add_f64 v[8:9], v[230:231], -v[182:183]
	v_fmac_f64_e32 v[44:45], s[12:13], v[12:13]
	v_fmac_f64_e32 v[40:41], s[12:13], v[12:13]
	v_fma_f64 v[50:51], s[10:11], v[8:9], v[48:49]
	v_add_f64 v[10:11], v[236:237], -v[238:239]
	v_add_f64 v[12:13], v[228:229], -v[232:233]
	;; [unrolled: 1-line block ×3, first 2 shown]
	v_fmac_f64_e32 v[48:49], s[16:17], v[8:9]
	v_fmac_f64_e32 v[50:51], s[8:9], v[10:11]
	v_add_f64 v[12:13], v[12:13], v[14:15]
	v_fmac_f64_e32 v[48:49], s[14:15], v[10:11]
	v_fmac_f64_e32 v[50:51], s[12:13], v[12:13]
	;; [unrolled: 1-line block ×3, first 2 shown]
	v_add_f64 v[12:13], v[228:229], v[180:181]
	v_fmac_f64_e32 v[42:43], -0.5, v[12:13]
	v_fmac_f64_e32 v[90:91], v[52:53], v[172:173]
	v_fma_f64 v[52:53], s[16:17], v[10:11], v[42:43]
	v_fmac_f64_e32 v[42:43], s[10:11], v[10:11]
	v_fmac_f64_e32 v[52:53], s[8:9], v[8:9]
	;; [unrolled: 1-line block ×3, first 2 shown]
	v_add_f64 v[8:9], v[222:223], v[226:227]
	v_add_f64 v[8:9], v[8:9], v[38:39]
	;; [unrolled: 1-line block ×3, first 2 shown]
	v_add_f64 v[12:13], v[232:233], -v[228:229]
	v_add_f64 v[14:15], v[234:235], -v[180:181]
	v_add_f64 v[54:55], v[8:9], v[178:179]
	v_add_f64 v[8:9], v[38:39], v[176:177]
	;; [unrolled: 1-line block ×3, first 2 shown]
	v_fma_f64 v[22:23], -0.5, v[8:9], v[222:223]
	v_add_f64 v[8:9], v[170:171], -v[24:25]
	v_fmac_f64_e32 v[52:53], s[12:13], v[12:13]
	v_fmac_f64_e32 v[42:43], s[12:13], v[12:13]
	v_fma_f64 v[10:11], s[16:17], v[8:9], v[22:23]
	v_add_f64 v[12:13], v[36:37], -v[32:33]
	v_add_f64 v[14:15], v[226:227], -v[38:39]
	;; [unrolled: 1-line block ×3, first 2 shown]
	v_fmac_f64_e32 v[22:23], s[10:11], v[8:9]
	v_fmac_f64_e32 v[10:11], s[14:15], v[12:13]
	v_add_f64 v[14:15], v[14:15], v[16:17]
	v_fmac_f64_e32 v[22:23], s[8:9], v[12:13]
	v_fmac_f64_e32 v[10:11], s[12:13], v[14:15]
	;; [unrolled: 1-line block ×3, first 2 shown]
	v_add_f64 v[14:15], v[226:227], v[178:179]
	v_fmac_f64_e32 v[222:223], -0.5, v[14:15]
	v_fma_f64 v[26:27], s[10:11], v[12:13], v[222:223]
	v_fmac_f64_e32 v[222:223], s[16:17], v[12:13]
	v_fmac_f64_e32 v[26:27], s[14:15], v[8:9]
	;; [unrolled: 1-line block ×3, first 2 shown]
	v_add_f64 v[8:9], v[224:225], v[170:171]
	v_add_f64 v[8:9], v[8:9], v[36:37]
	v_mul_f64 v[112:113], v[58:59], v[194:195]
	v_add_f64 v[8:9], v[8:9], v[32:33]
	v_fmac_f64_e32 v[112:113], v[56:57], v[192:193]
	v_add_f64 v[14:15], v[38:39], -v[226:227]
	v_add_f64 v[16:17], v[176:177], -v[178:179]
	v_add_f64 v[56:57], v[8:9], v[24:25]
	v_add_f64 v[8:9], v[36:37], v[32:33]
	;; [unrolled: 1-line block ×3, first 2 shown]
	v_fma_f64 v[58:59], -0.5, v[8:9], v[224:225]
	v_add_f64 v[8:9], v[226:227], -v[178:179]
	v_fmac_f64_e32 v[26:27], s[12:13], v[14:15]
	v_fmac_f64_e32 v[222:223], s[12:13], v[14:15]
	v_fma_f64 v[14:15], s[10:11], v[8:9], v[58:59]
	v_add_f64 v[12:13], v[38:39], -v[176:177]
	v_add_f64 v[16:17], v[170:171], -v[36:37]
	;; [unrolled: 1-line block ×3, first 2 shown]
	v_fmac_f64_e32 v[58:59], s[16:17], v[8:9]
	v_fmac_f64_e32 v[14:15], s[8:9], v[12:13]
	v_add_f64 v[16:17], v[16:17], v[18:19]
	v_fmac_f64_e32 v[58:59], s[14:15], v[12:13]
	v_fmac_f64_e32 v[14:15], s[12:13], v[16:17]
	;; [unrolled: 1-line block ×3, first 2 shown]
	v_add_f64 v[16:17], v[170:171], v[24:25]
	v_fmac_f64_e32 v[224:225], -0.5, v[16:17]
	v_fma_f64 v[38:39], s[16:17], v[12:13], v[224:225]
	v_add_f64 v[16:17], v[36:37], -v[170:171]
	v_add_f64 v[18:19], v[32:33], -v[24:25]
	v_fmac_f64_e32 v[224:225], s[10:11], v[12:13]
	v_add_f64 v[16:17], v[16:17], v[18:19]
	v_fmac_f64_e32 v[224:225], s[14:15], v[8:9]
	v_mul_f64 v[100:101], v[118:119], v[254:255]
	v_fmac_f64_e32 v[38:39], s[8:9], v[8:9]
	v_fmac_f64_e32 v[224:225], s[12:13], v[16:17]
	v_mul_f64 v[98:99], v[62:63], v[198:199]
	v_fmac_f64_e32 v[100:101], v[116:117], v[252:253]
	v_fmac_f64_e32 v[38:39], s[12:13], v[16:17]
	v_mul_f64 v[116:117], v[58:59], s[14:15]
	v_mul_f64 v[128:129], v[224:225], s[20:21]
	;; [unrolled: 1-line block ×3, first 2 shown]
	v_fmac_f64_e32 v[98:99], v[60:61], v[196:197]
	v_mul_f64 v[124:125], v[138:139], v[122:123]
	v_mul_f64 v[60:61], v[38:39], s[16:17]
	;; [unrolled: 1-line block ×3, first 2 shown]
	v_fmac_f64_e32 v[128:129], s[10:11], v[222:223]
	v_fmac_f64_e32 v[58:59], s[8:9], v[22:23]
	;; [unrolled: 1-line block ×4, first 2 shown]
	v_add_f64 v[18:19], v[46:47], v[56:57]
	v_fmac_f64_e32 v[122:123], s[10:11], v[26:27]
	v_add_f64 v[26:27], v[42:43], v[128:129]
	v_add_f64 v[22:23], v[48:49], v[58:59]
	v_add_f64 v[38:39], v[46:47], -v[56:57]
	v_add_f64 v[46:47], v[42:43], -v[128:129]
	;; [unrolled: 1-line block ×3, first 2 shown]
	v_add_f64 v[48:49], v[4:5], v[166:167]
	v_mul_f64 v[32:33], v[14:15], s[14:15]
	v_mul_f64 v[118:119], v[14:15], s[22:23]
	v_add_f64 v[48:49], v[48:49], v[168:169]
	v_fmac_f64_e32 v[32:33], s[22:23], v[10:11]
	v_mul_f64 v[62:63], v[224:225], s[16:17]
	v_fmac_f64_e32 v[118:119], s[8:9], v[10:11]
	v_add_f64 v[48:49], v[48:49], v[160:161]
	v_add_f64 v[12:13], v[34:35], v[32:33]
	v_fmac_f64_e32 v[62:63], s[20:21], v[222:223]
	v_add_f64 v[14:15], v[50:51], v[118:119]
	v_add_f64 v[32:33], v[34:35], -v[32:33]
	v_add_f64 v[34:35], v[50:51], -v[118:119]
	v_add_f64 v[118:119], v[48:49], v[148:149]
	v_add_f64 v[48:49], v[168:169], v[160:161]
	;; [unrolled: 1-line block ×6, first 2 shown]
	v_add_f64 v[36:37], v[28:29], -v[54:55]
	v_add_f64 v[28:29], v[44:45], -v[60:61]
	;; [unrolled: 1-line block ×4, first 2 shown]
	v_fma_f64 v[116:117], -0.5, v[48:49], v[4:5]
	v_add_f64 v[48:49], v[126:127], -v[144:145]
	v_add_f64 v[10:11], v[52:53], v[122:123]
	v_add_f64 v[30:31], v[52:53], -v[122:123]
	v_fma_f64 v[122:123], s[16:17], v[48:49], v[116:117]
	v_add_f64 v[50:51], v[164:165], -v[156:157]
	v_add_f64 v[52:53], v[166:167], -v[168:169]
	;; [unrolled: 1-line block ×3, first 2 shown]
	v_fmac_f64_e32 v[116:117], s[10:11], v[48:49]
	v_fmac_f64_e32 v[122:123], s[14:15], v[50:51]
	v_add_f64 v[52:53], v[52:53], v[54:55]
	v_fmac_f64_e32 v[116:117], s[8:9], v[50:51]
	v_fmac_f64_e32 v[122:123], s[12:13], v[52:53]
	;; [unrolled: 1-line block ×3, first 2 shown]
	v_add_f64 v[52:53], v[166:167], v[148:149]
	v_fmac_f64_e32 v[124:125], v[136:137], v[120:121]
	v_mul_f64 v[120:121], v[134:135], v[212:213]
	v_fmac_f64_e32 v[4:5], -0.5, v[52:53]
	v_fmac_f64_e32 v[120:121], v[132:133], v[210:211]
	v_fma_f64 v[132:133], s[10:11], v[50:51], v[4:5]
	v_fmac_f64_e32 v[4:5], s[16:17], v[50:51]
	v_fmac_f64_e32 v[132:133], s[14:15], v[48:49]
	;; [unrolled: 1-line block ×3, first 2 shown]
	v_add_f64 v[48:49], v[6:7], v[126:127]
	v_add_f64 v[48:49], v[48:49], v[164:165]
	;; [unrolled: 1-line block ×3, first 2 shown]
	v_add_f64 v[52:53], v[168:169], -v[166:167]
	v_add_f64 v[54:55], v[160:161], -v[148:149]
	v_add_f64 v[128:129], v[48:49], v[144:145]
	v_add_f64 v[48:49], v[164:165], v[156:157]
	;; [unrolled: 1-line block ×3, first 2 shown]
	v_fma_f64 v[130:131], -0.5, v[48:49], v[6:7]
	v_add_f64 v[48:49], v[166:167], -v[148:149]
	v_fmac_f64_e32 v[132:133], s[12:13], v[52:53]
	v_fmac_f64_e32 v[4:5], s[12:13], v[52:53]
	v_fma_f64 v[134:135], s[10:11], v[48:49], v[130:131]
	v_add_f64 v[50:51], v[168:169], -v[160:161]
	v_add_f64 v[52:53], v[126:127], -v[164:165]
	;; [unrolled: 1-line block ×3, first 2 shown]
	v_fmac_f64_e32 v[130:131], s[16:17], v[48:49]
	v_fmac_f64_e32 v[134:135], s[8:9], v[50:51]
	v_add_f64 v[52:53], v[52:53], v[54:55]
	v_fmac_f64_e32 v[130:131], s[14:15], v[50:51]
	v_fmac_f64_e32 v[134:135], s[12:13], v[52:53]
	;; [unrolled: 1-line block ×3, first 2 shown]
	v_add_f64 v[52:53], v[126:127], v[144:145]
	v_fmac_f64_e32 v[6:7], -0.5, v[52:53]
	v_fma_f64 v[136:137], s[16:17], v[50:51], v[6:7]
	v_fmac_f64_e32 v[6:7], s[10:11], v[50:51]
	v_fmac_f64_e32 v[136:137], s[8:9], v[48:49]
	;; [unrolled: 1-line block ×3, first 2 shown]
	v_add_f64 v[48:49], v[66:67], v[76:77]
	v_add_f64 v[48:49], v[48:49], v[78:79]
	;; [unrolled: 1-line block ×3, first 2 shown]
	v_add_f64 v[52:53], v[164:165], -v[126:127]
	v_add_f64 v[54:55], v[156:157], -v[144:145]
	v_add_f64 v[126:127], v[48:49], v[82:83]
	v_add_f64 v[48:49], v[78:79], v[80:81]
	;; [unrolled: 1-line block ×3, first 2 shown]
	v_fma_f64 v[62:63], -0.5, v[48:49], v[66:67]
	v_add_f64 v[48:49], v[64:65], -v[74:75]
	v_fmac_f64_e32 v[136:137], s[12:13], v[52:53]
	v_fmac_f64_e32 v[6:7], s[12:13], v[52:53]
	v_fma_f64 v[50:51], s[16:17], v[48:49], v[62:63]
	v_add_f64 v[52:53], v[70:71], -v[72:73]
	v_add_f64 v[54:55], v[76:77], -v[78:79]
	;; [unrolled: 1-line block ×3, first 2 shown]
	v_fmac_f64_e32 v[62:63], s[10:11], v[48:49]
	v_fmac_f64_e32 v[50:51], s[14:15], v[52:53]
	v_add_f64 v[54:55], v[54:55], v[56:57]
	v_fmac_f64_e32 v[62:63], s[8:9], v[52:53]
	v_fmac_f64_e32 v[50:51], s[12:13], v[54:55]
	;; [unrolled: 1-line block ×3, first 2 shown]
	v_add_f64 v[54:55], v[76:77], v[82:83]
	v_fmac_f64_e32 v[66:67], -0.5, v[54:55]
	v_fma_f64 v[138:139], s[10:11], v[52:53], v[66:67]
	v_fmac_f64_e32 v[66:67], s[16:17], v[52:53]
	v_fmac_f64_e32 v[138:139], s[14:15], v[48:49]
	;; [unrolled: 1-line block ×3, first 2 shown]
	v_add_f64 v[48:49], v[68:69], v[64:65]
	v_add_f64 v[48:49], v[48:49], v[70:71]
	v_mul_f64 v[94:95], v[142:143], v[250:251]
	v_add_f64 v[48:49], v[48:49], v[72:73]
	v_fmac_f64_e32 v[94:95], v[140:141], v[248:249]
	v_add_f64 v[54:55], v[78:79], -v[76:77]
	v_add_f64 v[56:57], v[80:81], -v[82:83]
	v_add_f64 v[140:141], v[48:49], v[74:75]
	v_add_f64 v[48:49], v[70:71], v[72:73]
	;; [unrolled: 1-line block ×3, first 2 shown]
	v_fma_f64 v[142:143], -0.5, v[48:49], v[68:69]
	v_add_f64 v[48:49], v[76:77], -v[82:83]
	v_fmac_f64_e32 v[138:139], s[12:13], v[54:55]
	v_fmac_f64_e32 v[66:67], s[12:13], v[54:55]
	v_fma_f64 v[54:55], s[10:11], v[48:49], v[142:143]
	v_add_f64 v[52:53], v[78:79], -v[80:81]
	v_add_f64 v[56:57], v[64:65], -v[70:71]
	;; [unrolled: 1-line block ×3, first 2 shown]
	v_fmac_f64_e32 v[142:143], s[16:17], v[48:49]
	v_fmac_f64_e32 v[54:55], s[8:9], v[52:53]
	v_add_f64 v[56:57], v[56:57], v[58:59]
	v_fmac_f64_e32 v[142:143], s[14:15], v[52:53]
	v_fmac_f64_e32 v[54:55], s[12:13], v[56:57]
	;; [unrolled: 1-line block ×3, first 2 shown]
	v_add_f64 v[56:57], v[64:65], v[74:75]
	v_fmac_f64_e32 v[68:69], -0.5, v[56:57]
	v_fma_f64 v[76:77], s[16:17], v[52:53], v[68:69]
	v_add_f64 v[56:57], v[70:71], -v[64:65]
	v_add_f64 v[58:59], v[72:73], -v[74:75]
	v_fmac_f64_e32 v[76:77], s[8:9], v[48:49]
	v_add_f64 v[56:57], v[56:57], v[58:59]
	v_fmac_f64_e32 v[68:69], s[10:11], v[52:53]
	v_fmac_f64_e32 v[76:77], s[12:13], v[56:57]
	;; [unrolled: 1-line block ×4, first 2 shown]
	v_mul_f64 v[70:71], v[54:55], s[14:15]
	v_mul_f64 v[74:75], v[76:77], s[16:17]
	;; [unrolled: 1-line block ×3, first 2 shown]
	v_add_f64 v[56:57], v[118:119], v[126:127]
	v_fmac_f64_e32 v[70:71], s[22:23], v[50:51]
	v_fmac_f64_e32 v[74:75], s[12:13], v[138:139]
	v_mul_f64 v[78:79], v[68:69], s[16:17]
	v_mul_f64 v[82:83], v[142:143], s[14:15]
	v_fmac_f64_e32 v[146:147], s[10:11], v[138:139]
	v_mul_f64 v[138:139], v[68:69], s[20:21]
	v_mul_f64 v[142:143], v[142:143], s[18:19]
	v_add_f64 v[76:77], v[118:119], -v[126:127]
	v_add_f64 v[118:119], v[114:115], v[124:125]
	v_add_f64 v[52:53], v[122:123], v[70:71]
	v_fmac_f64_e32 v[78:79], s[20:21], v[66:67]
	v_fmac_f64_e32 v[82:83], s[18:19], v[62:63]
	;; [unrolled: 1-line block ×4, first 2 shown]
	v_add_f64 v[72:73], v[122:123], -v[70:71]
	v_fma_f64 v[118:119], -0.5, v[118:119], v[0:1]
	v_add_f64 v[122:123], v[104:105], -v[110:111]
	v_add_f64 v[48:49], v[132:133], v[74:75]
	v_add_f64 v[64:65], v[4:5], v[78:79]
	v_add_f64 v[60:61], v[116:117], v[82:83]
	v_add_f64 v[58:59], v[128:129], v[140:141]
	v_add_f64 v[66:67], v[6:7], v[138:139]
	v_add_f64 v[62:63], v[130:131], v[142:143]
	v_add_f64 v[68:69], v[132:133], -v[74:75]
	v_add_f64 v[80:81], v[4:5], -v[78:79]
	;; [unrolled: 1-line block ×6, first 2 shown]
	v_fma_f64 v[126:127], s[16:17], v[122:123], v[118:119]
	v_add_f64 v[128:129], v[106:107], -v[108:109]
	v_add_f64 v[130:131], v[112:113], -v[114:115]
	;; [unrolled: 1-line block ×3, first 2 shown]
	v_fmac_f64_e32 v[118:119], s[10:11], v[122:123]
	v_fmac_f64_e32 v[126:127], s[14:15], v[128:129]
	v_add_f64 v[130:131], v[130:131], v[132:133]
	v_fmac_f64_e32 v[118:119], s[8:9], v[128:129]
	v_fmac_f64_e32 v[126:127], s[12:13], v[130:131]
	;; [unrolled: 1-line block ×3, first 2 shown]
	v_add_f64 v[130:131], v[112:113], v[120:121]
	v_add_f64 v[116:117], v[0:1], v[112:113]
	v_fmac_f64_e32 v[0:1], -0.5, v[130:131]
	v_fma_f64 v[130:131], s[10:11], v[128:129], v[0:1]
	v_fmac_f64_e32 v[0:1], s[16:17], v[128:129]
	v_fmac_f64_e32 v[130:131], s[14:15], v[122:123]
	;; [unrolled: 1-line block ×3, first 2 shown]
	v_add_f64 v[122:123], v[2:3], v[104:105]
	v_mul_f64 v[144:145], v[54:55], s[22:23]
	v_add_f64 v[122:123], v[122:123], v[106:107]
	v_fmac_f64_e32 v[144:145], s[8:9], v[50:51]
	v_add_f64 v[122:123], v[122:123], v[108:109]
	v_add_f64 v[54:55], v[134:135], v[144:145]
	v_add_f64 v[74:75], v[134:135], -v[144:145]
	v_add_f64 v[116:117], v[116:117], v[114:115]
	v_add_f64 v[132:133], v[114:115], -v[112:113]
	v_add_f64 v[134:135], v[124:125], -v[120:121]
	v_add_f64 v[128:129], v[122:123], v[110:111]
	v_add_f64 v[122:123], v[106:107], v[108:109]
	;; [unrolled: 1-line block ×4, first 2 shown]
	v_fma_f64 v[122:123], -0.5, v[122:123], v[2:3]
	v_add_f64 v[112:113], v[112:113], -v[120:121]
	v_add_f64 v[116:117], v[116:117], v[120:121]
	v_fmac_f64_e32 v[130:131], s[12:13], v[132:133]
	v_fmac_f64_e32 v[0:1], s[12:13], v[132:133]
	v_fma_f64 v[120:121], s[10:11], v[112:113], v[122:123]
	v_add_f64 v[114:115], v[114:115], -v[124:125]
	v_add_f64 v[124:125], v[104:105], -v[106:107]
	;; [unrolled: 1-line block ×3, first 2 shown]
	v_fmac_f64_e32 v[122:123], s[16:17], v[112:113]
	v_fmac_f64_e32 v[120:121], s[8:9], v[114:115]
	v_add_f64 v[124:125], v[124:125], v[132:133]
	v_fmac_f64_e32 v[122:123], s[14:15], v[114:115]
	v_fmac_f64_e32 v[120:121], s[12:13], v[124:125]
	v_fmac_f64_e32 v[122:123], s[12:13], v[124:125]
	v_add_f64 v[124:125], v[104:105], v[110:111]
	v_add_f64 v[104:105], v[106:107], -v[104:105]
	v_add_f64 v[106:107], v[108:109], -v[110:111]
	v_fmac_f64_e32 v[2:3], -0.5, v[124:125]
	v_add_f64 v[104:105], v[104:105], v[106:107]
	v_add_f64 v[106:107], v[92:93], v[94:95]
	v_fma_f64 v[124:125], s[16:17], v[114:115], v[2:3]
	v_fmac_f64_e32 v[2:3], s[10:11], v[114:115]
	v_fma_f64 v[106:107], -0.5, v[106:107], v[98:99]
	v_add_f64 v[108:109], v[84:85], -v[96:97]
	v_fmac_f64_e32 v[124:125], s[8:9], v[112:113]
	v_fmac_f64_e32 v[2:3], s[14:15], v[112:113]
	v_fma_f64 v[110:111], s[16:17], v[108:109], v[106:107]
	v_add_f64 v[112:113], v[86:87], -v[88:89]
	v_add_f64 v[114:115], v[90:91], -v[92:93]
	;; [unrolled: 1-line block ×3, first 2 shown]
	v_fmac_f64_e32 v[106:107], s[10:11], v[108:109]
	v_fmac_f64_e32 v[110:111], s[14:15], v[112:113]
	v_add_f64 v[114:115], v[114:115], v[132:133]
	v_fmac_f64_e32 v[106:107], s[8:9], v[112:113]
	v_fmac_f64_e32 v[110:111], s[12:13], v[114:115]
	;; [unrolled: 1-line block ×3, first 2 shown]
	v_add_f64 v[114:115], v[90:91], v[100:101]
	v_fmac_f64_e32 v[124:125], s[12:13], v[104:105]
	v_fmac_f64_e32 v[2:3], s[12:13], v[104:105]
	v_add_f64 v[104:105], v[98:99], v[90:91]
	v_fmac_f64_e32 v[98:99], -0.5, v[114:115]
	v_fma_f64 v[114:115], s[10:11], v[112:113], v[98:99]
	v_fmac_f64_e32 v[98:99], s[16:17], v[112:113]
	v_fmac_f64_e32 v[114:115], s[14:15], v[108:109]
	;; [unrolled: 1-line block ×3, first 2 shown]
	v_add_f64 v[108:109], v[102:103], v[84:85]
	v_add_f64 v[108:109], v[108:109], v[86:87]
	v_add_f64 v[132:133], v[92:93], -v[90:91]
	v_add_f64 v[134:135], v[94:95], -v[100:101]
	v_add_f64 v[108:109], v[108:109], v[88:89]
	v_add_f64 v[104:105], v[104:105], v[92:93]
	v_add_f64 v[132:133], v[132:133], v[134:135]
	v_add_f64 v[134:135], v[108:109], v[96:97]
	v_add_f64 v[108:109], v[86:87], v[88:89]
	v_add_f64 v[104:105], v[104:105], v[94:95]
	v_fma_f64 v[108:109], -0.5, v[108:109], v[102:103]
	v_add_f64 v[90:91], v[90:91], -v[100:101]
	v_add_f64 v[104:105], v[104:105], v[100:101]
	v_fma_f64 v[112:113], s[10:11], v[90:91], v[108:109]
	v_add_f64 v[92:93], v[92:93], -v[94:95]
	v_add_f64 v[94:95], v[84:85], -v[86:87]
	;; [unrolled: 1-line block ×3, first 2 shown]
	v_fmac_f64_e32 v[108:109], s[16:17], v[90:91]
	v_fmac_f64_e32 v[112:113], s[8:9], v[92:93]
	v_add_f64 v[94:95], v[94:95], v[100:101]
	v_fmac_f64_e32 v[108:109], s[14:15], v[92:93]
	v_fmac_f64_e32 v[112:113], s[12:13], v[94:95]
	;; [unrolled: 1-line block ×3, first 2 shown]
	v_add_f64 v[94:95], v[84:85], v[96:97]
	v_fmac_f64_e32 v[102:103], -0.5, v[94:95]
	v_mul_f64 v[144:145], v[112:113], s[22:23]
	v_add_f64 v[50:51], v[136:137], v[146:147]
	v_add_f64 v[70:71], v[136:137], -v[146:147]
	v_fmac_f64_e32 v[114:115], s[12:13], v[132:133]
	v_fmac_f64_e32 v[98:99], s[12:13], v[132:133]
	v_fma_f64 v[132:133], s[16:17], v[92:93], v[102:103]
	v_fmac_f64_e32 v[102:103], s[10:11], v[92:93]
	v_mul_f64 v[136:137], v[112:113], s[14:15]
	v_fmac_f64_e32 v[144:145], s[8:9], v[110:111]
	v_fmac_f64_e32 v[132:133], s[8:9], v[90:91]
	v_add_f64 v[84:85], v[86:87], -v[84:85]
	v_add_f64 v[86:87], v[88:89], -v[96:97]
	v_fmac_f64_e32 v[102:103], s[14:15], v[90:91]
	v_fmac_f64_e32 v[136:137], s[22:23], v[110:111]
	v_add_f64 v[90:91], v[120:121], v[144:145]
	v_add_f64 v[110:111], v[120:121], -v[144:145]
	v_mul_u32_u24_e32 v120, 0x12c0, v243
	v_lshlrev_b32_sdwa v121, v242, v244 dst_sel:DWORD dst_unused:UNUSED_PAD src0_sel:DWORD src1_sel:BYTE_0
	v_add_f64 v[84:85], v[84:85], v[86:87]
	v_add3_u32 v120, 0, v120, v121
	v_fmac_f64_e32 v[102:103], s[12:13], v[84:85]
	s_barrier
	ds_write_b128 v120, v[16:19]
	ds_write_b128 v120, v[12:15] offset:480
	ds_write_b128 v120, v[8:11] offset:960
	;; [unrolled: 1-line block ×9, first 2 shown]
	v_mul_u32_u24_e32 v8, 0x12c0, v201
	v_lshlrev_b32_sdwa v9, v242, v245 dst_sel:DWORD dst_unused:UNUSED_PAD src0_sel:DWORD src1_sel:BYTE_0
	v_fmac_f64_e32 v[132:133], s[12:13], v[84:85]
	v_mul_f64 v[140:141], v[102:103], s[16:17]
	v_mul_f64 v[142:143], v[108:109], s[14:15]
	v_add3_u32 v8, 0, v8, v9
	v_mul_f64 v[138:139], v[132:133], s[16:17]
	v_fmac_f64_e32 v[140:141], s[20:21], v[98:99]
	v_fmac_f64_e32 v[142:143], s[18:19], v[106:107]
	v_mul_f64 v[146:147], v[132:133], s[12:13]
	v_mul_f64 v[148:149], v[102:103], s[20:21]
	v_mul_f64 v[132:133], v[108:109], s[18:19]
	ds_write_b128 v8, v[56:59]
	ds_write_b128 v8, v[52:55] offset:480
	ds_write_b128 v8, v[48:51] offset:960
	;; [unrolled: 1-line block ×9, first 2 shown]
	v_mul_u32_u24_e32 v4, 0x12c0, v221
	v_lshlrev_b32_e32 v5, 4, v203
	v_add_f64 v[92:93], v[116:117], v[104:105]
	v_fmac_f64_e32 v[138:139], s[12:13], v[114:115]
	v_add_f64 v[100:101], v[0:1], v[140:141]
	v_add_f64 v[94:95], v[128:129], v[134:135]
	v_fmac_f64_e32 v[146:147], s[10:11], v[114:115]
	v_fmac_f64_e32 v[148:149], s[10:11], v[98:99]
	;; [unrolled: 1-line block ×3, first 2 shown]
	v_add_f64 v[112:113], v[116:117], -v[104:105]
	v_add_f64 v[116:117], v[0:1], -v[140:141]
	;; [unrolled: 1-line block ×3, first 2 shown]
	v_add3_u32 v4, 0, v4, v5
	v_add_f64 v[88:89], v[126:127], v[136:137]
	v_add_f64 v[84:85], v[130:131], v[138:139]
	v_add_f64 v[96:97], v[118:119], v[142:143]
	v_add_f64 v[86:87], v[124:125], v[146:147]
	v_add_f64 v[102:103], v[2:3], v[148:149]
	v_add_f64 v[98:99], v[122:123], v[132:133]
	v_add_f64 v[108:109], v[126:127], -v[136:137]
	v_add_f64 v[104:105], v[130:131], -v[138:139]
	;; [unrolled: 1-line block ×6, first 2 shown]
	ds_write_b128 v4, v[92:95]
	ds_write_b128 v4, v[88:91] offset:480
	ds_write_b128 v4, v[84:87] offset:960
	ds_write_b128 v4, v[100:103] offset:1440
	ds_write_b128 v4, v[96:99] offset:1920
	ds_write_b128 v4, v[112:115] offset:2400
	ds_write_b128 v4, v[108:111] offset:2880
	ds_write_b128 v4, v[104:107] offset:3360
	ds_write_b128 v4, v[116:119] offset:3840
	ds_write_b128 v4, v[0:3] offset:4320
	v_accvgpr_read_b32 v1, a7               ;  Reload Reuse
	v_lshlrev_b32_e32 v156, 1, v200
	v_mov_b32_e32 v157, 0
	v_accvgpr_read_b32 v0, a9               ;  Reload Reuse
	v_lshl_add_u64 v[152:153], v[156:157], 4, s[4:5]
	s_movk_i32 s10, 0x1000
	v_lshl_add_u32 v163, v0, 4, 0
	v_accvgpr_read_b32 v1, a10              ;  Reload Reuse
	s_mov_b64 s[8:9], 0x1290
	v_add_co_u32_e32 v30, vcc, s10, v152
	v_accvgpr_read_b32 v205, a8
	v_accvgpr_read_b32 v0, a11              ;  Reload Reuse
	v_lshl_add_u32 v161, v216, 4, 0
	v_lshl_add_u64 v[28:29], v[152:153], 0, s[8:9]
	v_addc_co_u32_e32 v31, vcc, 0, v153, vcc
	s_waitcnt lgkmcnt(0)
	s_barrier
	ds_read_b128 v[100:103], v240 offset:14400
	ds_read_b128 v[88:91], v240 offset:15840
	;; [unrolled: 1-line block ×4, first 2 shown]
	ds_read_b128 v[24:27], v247
	ds_read_b128 v[20:23], v217
	ds_read_b128 v[76:79], v240 offset:31680
	ds_read_b128 v[16:19], v205
	ds_read_b128 v[92:95], v240 offset:17280
	ds_read_b128 v[72:75], v240 offset:18720
	;; [unrolled: 1-line block ×4, first 2 shown]
	v_lshl_add_u32 v162, v0, 4, 0
	ds_read_b128 v[12:15], v163
	ds_read_b128 v[8:11], v162
	ds_read_b128 v[80:83], v240 offset:20160
	ds_read_b128 v[64:67], v240 offset:21600
	;; [unrolled: 1-line block ×6, first 2 shown]
	v_lshl_add_u32 v160, v214, 4, 0
	ds_read_b128 v[4:7], v161
	ds_read_b128 v[0:3], v160
	ds_read_b128 v[48:51], v240 offset:38880
	ds_read_b128 v[36:39], v240 offset:40320
	global_load_dwordx4 v[104:107], v[30:31], off offset:656
	global_load_dwordx4 v[108:111], v[28:29], off offset:16
	v_lshlrev_b32_e32 v28, 1, v204
	v_mov_b32_e32 v29, v157
	v_lshl_add_u64 v[154:155], v[28:29], 4, s[4:5]
	v_add_co_u32_e32 v30, vcc, s10, v154
	v_lshl_add_u64 v[28:29], v[154:155], 0, s[8:9]
	s_nop 0
	v_addc_co_u32_e32 v31, vcc, 0, v155, vcc
	global_load_dwordx4 v[112:115], v[30:31], off offset:656
	global_load_dwordx4 v[116:119], v[28:29], off offset:16
	v_lshlrev_b32_e32 v28, 1, v220
	v_mov_b32_e32 v29, v157
	v_lshl_add_u64 v[158:159], v[28:29], 4, s[4:5]
	v_add_co_u32_e32 v30, vcc, s10, v158
	v_lshl_add_u64 v[28:29], v[158:159], 0, s[8:9]
	s_nop 0
	v_addc_co_u32_e32 v31, vcc, 0, v159, vcc
	global_load_dwordx4 v[120:123], v[30:31], off offset:656
	global_load_dwordx4 v[124:127], v[28:29], off offset:16
	v_subrev_u32_e32 v28, 30, v200
	v_cmp_gt_u32_e32 vcc, 30, v200
	v_mov_b32_e32 v29, v157
	v_mov_b32_e32 v201, v215
	v_cndmask_b32_e32 v164, v28, v218, vcc
	v_lshlrev_b32_e32 v28, 1, v164
	v_lshl_add_u64 v[28:29], v[28:29], 4, s[4:5]
	v_lshl_add_u64 v[30:31], v[28:29], 0, s[8:9]
	v_add_co_u32_e32 v28, vcc, s10, v28
	s_waitcnt vmcnt(4) lgkmcnt(14)
	v_mul_f64 v[228:229], v[98:99], v[110:111]
	v_addc_co_u32_e32 v29, vcc, 0, v29, vcc
	global_load_dwordx4 v[128:131], v[28:29], off offset:656
	global_load_dwordx4 v[132:135], v[30:31], off offset:16
	v_add_u32_e32 v28, 0x78, v156
	v_mov_b32_e32 v29, v157
	v_lshl_add_u64 v[28:29], v[28:29], 4, s[4:5]
	v_lshl_add_u64 v[30:31], v[28:29], 0, s[8:9]
	v_add_co_u32_e32 v28, vcc, s10, v28
	v_add_u32_e32 v156, 0x12c, v156
	s_nop 0
	v_addc_co_u32_e32 v29, vcc, 0, v29, vcc
	global_load_dwordx4 v[136:139], v[28:29], off offset:656
	global_load_dwordx4 v[140:143], v[30:31], off offset:16
	v_lshl_add_u64 v[28:29], v[156:157], 4, s[4:5]
	v_lshl_add_u64 v[30:31], v[28:29], 0, s[8:9]
	v_add_co_u32_e32 v28, vcc, s10, v28
	v_fmac_f64_e32 v[228:229], v[96:97], v[108:109]
	s_nop 0
	v_addc_co_u32_e32 v29, vcc, 0, v29, vcc
	global_load_dwordx4 v[144:147], v[28:29], off offset:656
	global_load_dwordx4 v[148:151], v[30:31], off offset:16
	v_lshrrev_b16_e32 v28, 2, v246
	v_mul_u32_u24_e32 v28, 0x6d3b, v28
	v_lshrrev_b32_e32 v165, 21, v28
	v_mul_lo_u16_e32 v28, 0x12c, v165
	v_sub_u16_e32 v166, v246, v28
	v_lshlrev_b32_e32 v156, 5, v166
	v_lshl_add_u64 v[28:29], s[4:5], 0, v[156:157]
	v_lshl_add_u64 v[30:31], v[28:29], 0, s[8:9]
	v_add_co_u32_e32 v28, vcc, s10, v28
	v_mul_f64 v[96:97], v[96:97], v[110:111]
	s_nop 0
	v_addc_co_u32_e32 v29, vcc, 0, v29, vcc
	global_load_dwordx4 v[170:173], v[28:29], off offset:656
	global_load_dwordx4 v[174:177], v[30:31], off offset:16
	v_lshrrev_b16_e32 v28, 2, v216
	v_mul_u32_u24_e32 v28, 0x6d3b, v28
	v_lshrrev_b32_e32 v28, 21, v28
	v_mul_lo_u16_e32 v28, 0x12c, v28
	v_sub_u16_e32 v167, v216, v28
	v_lshlrev_b32_e32 v156, 5, v167
	v_lshl_add_u64 v[28:29], s[4:5], 0, v[156:157]
	v_lshl_add_u64 v[30:31], v[28:29], 0, s[8:9]
	v_add_co_u32_e32 v28, vcc, s10, v28
	v_fma_f64 v[96:97], v[98:99], v[108:109], -v[96:97]
	s_nop 0
	v_addc_co_u32_e32 v29, vcc, 0, v29, vcc
	global_load_dwordx4 v[178:181], v[28:29], off offset:656
	global_load_dwordx4 v[182:185], v[30:31], off offset:16
	v_lshrrev_b16_e32 v28, 2, v214
	v_mul_u32_u24_e32 v28, 0x6d3b, v28
	v_lshrrev_b32_e32 v28, 21, v28
	v_mul_lo_u16_e32 v28, 0x12c, v28
	v_sub_u16_e32 v168, v214, v28
	v_lshlrev_b32_e32 v156, 5, v168
	v_lshl_add_u64 v[28:29], s[4:5], 0, v[156:157]
	v_lshl_add_u64 v[30:31], v[28:29], 0, s[8:9]
	v_add_co_u32_e32 v28, vcc, s10, v28
	s_waitcnt vmcnt(13)
	v_mul_f64 v[98:99], v[90:91], v[114:115]
	v_addc_co_u32_e32 v29, vcc, 0, v29, vcc
	global_load_dwordx4 v[186:189], v[28:29], off offset:656
	global_load_dwordx4 v[190:193], v[30:31], off offset:16
	v_lshrrev_b16_e32 v28, 2, v202
	v_mul_u32_u24_e32 v28, 0x6d3b, v28
	v_lshrrev_b32_e32 v28, 21, v28
	v_mul_lo_u16_e32 v28, 0x12c, v28
	v_sub_u16_e32 v169, v202, v28
	v_lshlrev_b32_e32 v156, 5, v169
	v_lshl_add_u64 v[198:199], s[4:5], 0, v[156:157]
	v_add_co_u32_e32 v28, vcc, s10, v198
	v_fmac_f64_e32 v[98:99], v[88:89], v[112:113]
	s_nop 0
	v_addc_co_u32_e32 v29, vcc, 0, v199, vcc
	global_load_dwordx4 v[194:197], v[28:29], off offset:656
	v_lshl_add_u64 v[198:199], v[198:199], 0, s[8:9]
	global_load_dwordx4 v[206:209], v[198:199], off offset:16
	v_mul_f64 v[88:89], v[88:89], v[114:115]
	v_fma_f64 v[88:89], v[90:91], v[112:113], -v[88:89]
	s_waitcnt vmcnt(16)
	v_mul_f64 v[90:91], v[86:87], v[118:119]
	v_fmac_f64_e32 v[90:91], v[84:85], v[116:117]
	v_mul_f64 v[84:85], v[84:85], v[118:119]
	v_fma_f64 v[84:85], v[86:87], v[116:117], -v[84:85]
	s_waitcnt vmcnt(15)
	v_mul_f64 v[86:87], v[94:95], v[122:123]
	v_fmac_f64_e32 v[86:87], v[92:93], v[120:121]
	;; [unrolled: 5-line block ×3, first 2 shown]
	v_mul_f64 v[76:77], v[76:77], v[126:127]
	v_fma_f64 v[76:77], v[78:79], v[124:125], -v[76:77]
	s_waitcnt vmcnt(10) lgkmcnt(12)
	v_mul_f64 v[124:125], v[62:63], v[142:143]
	v_fmac_f64_e32 v[124:125], v[60:61], v[140:141]
	v_mul_f64 v[60:61], v[60:61], v[142:143]
	v_fma_f64 v[60:61], v[62:63], v[140:141], -v[60:61]
	v_mul_f64 v[198:199], v[102:103], v[106:107]
	ds_read_b128 v[32:35], v241
	ds_read_b128 v[28:31], v215
	s_waitcnt vmcnt(9) lgkmcnt(10)
	v_mul_f64 v[62:63], v[66:67], v[146:147]
	v_fmac_f64_e32 v[62:63], v[64:65], v[144:145]
	v_mul_f64 v[64:65], v[64:65], v[146:147]
	v_fma_f64 v[64:65], v[66:67], v[144:145], -v[64:65]
	s_waitcnt vmcnt(8) lgkmcnt(9)
	v_mul_f64 v[66:67], v[54:55], v[150:151]
	v_fmac_f64_e32 v[66:67], v[52:53], v[148:149]
	v_mul_f64 v[52:53], v[52:53], v[150:151]
	v_fma_f64 v[52:53], v[54:55], v[148:149], -v[52:53]
	ds_read_b128 v[210:213], v240 offset:25920
	ds_read_b128 v[222:225], v240 offset:27360
	v_fmac_f64_e32 v[198:199], v[100:101], v[104:105]
	v_mul_f64 v[100:101], v[100:101], v[106:107]
	v_fma_f64 v[226:227], v[102:103], v[104:105], -v[100:101]
	ds_read_b128 v[100:103], v240
	ds_read_b128 v[104:107], v240 offset:41760
	v_mul_f64 v[78:79], v[74:75], v[130:131]
	s_waitcnt vmcnt(7) lgkmcnt(11)
	v_mul_f64 v[54:55], v[58:59], v[172:173]
	v_fmac_f64_e32 v[54:55], v[56:57], v[170:171]
	v_mul_f64 v[56:57], v[56:57], v[172:173]
	v_fma_f64 v[56:57], v[58:59], v[170:171], -v[56:57]
	s_waitcnt vmcnt(6)
	v_mul_f64 v[58:59], v[42:43], v[176:177]
	v_fmac_f64_e32 v[58:59], v[40:41], v[174:175]
	v_mul_f64 v[40:41], v[40:41], v[176:177]
	v_fma_f64 v[40:41], v[42:43], v[174:175], -v[40:41]
	v_fmac_f64_e32 v[78:79], v[72:73], v[128:129]
	v_mul_f64 v[72:73], v[72:73], v[130:131]
	v_fma_f64 v[72:73], v[74:75], v[128:129], -v[72:73]
	v_mul_f64 v[74:75], v[70:71], v[134:135]
	v_fmac_f64_e32 v[74:75], v[68:69], v[132:133]
	v_mul_f64 v[68:69], v[68:69], v[134:135]
	s_waitcnt vmcnt(5) lgkmcnt(10)
	v_mul_f64 v[42:43], v[46:47], v[180:181]
	v_fmac_f64_e32 v[42:43], v[44:45], v[178:179]
	v_mul_f64 v[44:45], v[44:45], v[180:181]
	v_fma_f64 v[44:45], v[46:47], v[178:179], -v[44:45]
	s_waitcnt vmcnt(4) lgkmcnt(7)
	v_mul_f64 v[46:47], v[50:51], v[184:185]
	v_fmac_f64_e32 v[46:47], v[48:49], v[182:183]
	v_mul_f64 v[48:49], v[48:49], v[184:185]
	v_fma_f64 v[48:49], v[50:51], v[182:183], -v[48:49]
	v_fma_f64 v[68:69], v[70:71], v[132:133], -v[68:69]
	v_mul_f64 v[70:71], v[82:83], v[138:139]
	v_fmac_f64_e32 v[70:71], v[80:81], v[136:137]
	v_mul_f64 v[80:81], v[80:81], v[138:139]
	v_fma_f64 v[122:123], v[82:83], v[136:137], -v[80:81]
	s_waitcnt vmcnt(3) lgkmcnt(0)
	v_mul_f64 v[50:51], v[210:211], v[188:189]
	v_fma_f64 v[128:129], v[212:213], v[186:187], -v[50:51]
	v_mul_f64 v[126:127], v[212:213], v[188:189]
	v_fmac_f64_e32 v[126:127], v[210:211], v[186:187]
	s_waitcnt vmcnt(2)
	v_mul_f64 v[130:131], v[38:39], v[192:193]
	v_fmac_f64_e32 v[130:131], v[36:37], v[190:191]
	v_mul_f64 v[36:37], v[36:37], v[192:193]
	v_fma_f64 v[36:37], v[38:39], v[190:191], -v[36:37]
	s_barrier
	v_cmp_lt_u32_e32 vcc, 29, v200
	s_movk_i32 s10, 0x3000
	s_mov_b64 s[8:9], 0x3810
	v_lshlrev_b32_e32 v156, 1, v218
	s_waitcnt vmcnt(1)
	v_mul_f64 v[50:51], v[222:223], v[196:197]
	v_fma_f64 v[132:133], v[224:225], v[194:195], -v[50:51]
	s_waitcnt vmcnt(0)
	v_mul_f64 v[50:51], v[104:105], v[208:209]
	v_fma_f64 v[136:137], v[106:107], v[206:207], -v[50:51]
	v_add_f64 v[50:51], v[100:101], v[198:199]
	v_add_f64 v[116:117], v[50:51], v[228:229]
	v_add_f64 v[50:51], v[198:199], v[228:229]
	v_fmac_f64_e32 v[100:101], -0.5, v[50:51]
	v_add_f64 v[50:51], v[226:227], -v[96:97]
	v_fma_f64 v[112:113], s[2:3], v[50:51], v[100:101]
	v_fmac_f64_e32 v[100:101], s[6:7], v[50:51]
	v_add_f64 v[50:51], v[102:103], v[226:227]
	v_add_f64 v[118:119], v[50:51], v[96:97]
	;; [unrolled: 1-line block ×3, first 2 shown]
	v_fmac_f64_e32 v[102:103], -0.5, v[50:51]
	v_add_f64 v[50:51], v[198:199], -v[228:229]
	v_fma_f64 v[114:115], s[6:7], v[50:51], v[102:103]
	v_fmac_f64_e32 v[102:103], s[2:3], v[50:51]
	v_add_f64 v[50:51], v[24:25], v[98:99]
	v_add_f64 v[108:109], v[50:51], v[90:91]
	;; [unrolled: 1-line block ×3, first 2 shown]
	v_mul_f64 v[134:135], v[106:107], v[208:209]
	v_fmac_f64_e32 v[24:25], -0.5, v[50:51]
	v_add_f64 v[50:51], v[88:89], -v[84:85]
	v_fmac_f64_e32 v[134:135], v[104:105], v[206:207]
	v_fma_f64 v[104:105], s[2:3], v[50:51], v[24:25]
	v_fmac_f64_e32 v[24:25], s[6:7], v[50:51]
	v_add_f64 v[50:51], v[26:27], v[88:89]
	v_add_f64 v[110:111], v[50:51], v[84:85]
	v_add_f64 v[50:51], v[88:89], v[84:85]
	v_fmac_f64_e32 v[26:27], -0.5, v[50:51]
	v_add_f64 v[50:51], v[98:99], -v[90:91]
	v_fma_f64 v[106:107], s[6:7], v[50:51], v[26:27]
	v_fmac_f64_e32 v[26:27], s[2:3], v[50:51]
	v_add_f64 v[50:51], v[20:21], v[86:87]
	v_add_f64 v[96:97], v[50:51], v[120:121]
	v_add_f64 v[50:51], v[86:87], v[120:121]
	v_fmac_f64_e32 v[20:21], -0.5, v[50:51]
	v_add_f64 v[50:51], v[94:95], -v[76:77]
	;; [unrolled: 7-line block ×14, first 2 shown]
	v_fma_f64 v[44:45], s[2:3], v[40:41], v[0:1]
	v_fmac_f64_e32 v[0:1], s[6:7], v[40:41]
	v_add_f64 v[40:41], v[2:3], v[128:129]
	ds_write_b128 v240, v[116:119]
	ds_write_b128 v240, v[112:115] offset:4800
	ds_write_b128 v240, v[100:103] offset:9600
	ds_write_b128 v247, v[108:111]
	ds_write_b128 v247, v[104:107] offset:4800
	ds_write_b128 v247, v[24:27] offset:9600
	;; [unrolled: 3-line block ×3, first 2 shown]
	v_mov_b32_e32 v20, 0x3840
	v_mul_f64 v[38:39], v[224:225], v[196:197]
	v_add_f64 v[50:51], v[40:41], v[36:37]
	v_add_f64 v[36:37], v[128:129], v[36:37]
	v_cndmask_b32_e32 v20, 0, v20, vcc
	v_lshlrev_b32_e32 v21, 4, v164
	v_fmac_f64_e32 v[38:39], v[222:223], v[194:195]
	v_fmac_f64_e32 v[2:3], -0.5, v[36:37]
	v_add_f64 v[36:37], v[126:127], -v[130:131]
	v_add3_u32 v20, 0, v20, v21
	v_fma_f64 v[46:47], s[6:7], v[36:37], v[2:3]
	v_fmac_f64_e32 v[2:3], s[2:3], v[36:37]
	v_add_f64 v[36:37], v[28:29], v[38:39]
	ds_write_b128 v20, v[88:91]
	ds_write_b128 v20, v[84:87] offset:4800
	ds_write_b128 v20, v[16:19] offset:9600
	;; [unrolled: 1-line block ×8, first 2 shown]
	v_mul_u32_u24_e32 v8, 0x3840, v165
	v_lshlrev_b32_e32 v9, 4, v166
	v_add_f64 v[40:41], v[36:37], v[134:135]
	v_add_f64 v[36:37], v[38:39], v[134:135]
	v_add3_u32 v8, 0, v8, v9
	v_fmac_f64_e32 v[28:29], -0.5, v[36:37]
	v_add_f64 v[42:43], v[132:133], -v[136:137]
	v_add_f64 v[120:121], v[132:133], v[136:137]
	ds_write_b128 v8, v[64:67]
	ds_write_b128 v8, v[60:63] offset:4800
	ds_write_b128 v8, v[32:35] offset:9600
	v_lshl_add_u32 v8, v167, 4, 0
	v_fma_f64 v[36:37], s[2:3], v[42:43], v[28:29]
	v_fmac_f64_e32 v[28:29], s[6:7], v[42:43]
	v_add_f64 v[42:43], v[30:31], v[132:133]
	v_fmac_f64_e32 v[30:31], -0.5, v[120:121]
	v_add_f64 v[120:121], v[38:39], -v[134:135]
	ds_write_b128 v8, v[56:59] offset:28800
	ds_write_b128 v8, v[52:55] offset:33600
	ds_write_b128 v8, v[4:7] offset:38400
	v_lshl_add_u32 v4, v168, 4, 0
	v_add_f64 v[42:43], v[42:43], v[136:137]
	v_fma_f64 v[38:39], s[6:7], v[120:121], v[30:31]
	v_fmac_f64_e32 v[30:31], s[2:3], v[120:121]
	ds_write_b128 v4, v[48:51] offset:28800
	ds_write_b128 v4, v[44:47] offset:33600
	;; [unrolled: 1-line block ×3, first 2 shown]
	v_lshl_add_u32 v0, v169, 4, 0
	ds_write_b128 v0, v[40:43] offset:28800
	ds_write_b128 v0, v[36:39] offset:33600
	;; [unrolled: 1-line block ×3, first 2 shown]
	v_add_co_u32_e32 v30, vcc, s10, v152
	s_waitcnt lgkmcnt(0)
	s_nop 0
	v_addc_co_u32_e32 v31, vcc, 0, v153, vcc
	s_barrier
	ds_read_b128 v[92:95], v240 offset:14400
	ds_read_b128 v[84:87], v240 offset:15840
	;; [unrolled: 1-line block ×4, first 2 shown]
	ds_read_b128 v[24:27], v247
	ds_read_b128 v[20:23], v217
	ds_read_b128 v[76:79], v240 offset:31680
	ds_read_b128 v[16:19], v205
	ds_read_b128 v[88:91], v240 offset:17280
	ds_read_b128 v[72:75], v240 offset:18720
	;; [unrolled: 1-line block ×4, first 2 shown]
	ds_read_b128 v[12:15], v163
	ds_read_b128 v[8:11], v162
	ds_read_b128 v[68:71], v240 offset:20160
	ds_read_b128 v[60:63], v240 offset:21600
	;; [unrolled: 1-line block ×6, first 2 shown]
	ds_read_b128 v[4:7], v161
	ds_read_b128 v[0:3], v160
	ds_read_b128 v[40:43], v240 offset:38880
	ds_read_b128 v[32:35], v240 offset:40320
	v_lshl_add_u64 v[28:29], v[152:153], 0, s[8:9]
	global_load_dwordx4 v[108:111], v[30:31], off offset:2064
	global_load_dwordx4 v[112:115], v[28:29], off offset:16
	v_add_co_u32_e32 v30, vcc, s10, v154
	v_lshl_add_u64 v[28:29], v[154:155], 0, s[8:9]
	s_nop 0
	v_addc_co_u32_e32 v31, vcc, 0, v155, vcc
	global_load_dwordx4 v[116:119], v[30:31], off offset:2064
	global_load_dwordx4 v[120:123], v[28:29], off offset:16
	v_add_co_u32_e32 v30, vcc, s10, v158
	v_lshl_add_u64 v[28:29], v[158:159], 0, s[8:9]
	s_nop 0
	v_addc_co_u32_e32 v31, vcc, 0, v159, vcc
	v_accvgpr_read_b32 v225, a7             ;  Reload Reuse
	global_load_dwordx4 v[124:127], v[30:31], off offset:2064
	global_load_dwordx4 v[128:131], v[28:29], off offset:16
	v_lshl_add_u64 v[28:29], v[156:157], 4, s[4:5]
	v_accvgpr_read_b32 v224, a9             ;  Reload Reuse
	v_lshl_add_u64 v[30:31], v[28:29], 0, s[8:9]
	v_add_co_u32_e32 v28, vcc, s10, v28
	v_lshlrev_b32_e32 v156, 1, v224
	s_nop 0
	v_addc_co_u32_e32 v29, vcc, 0, v29, vcc
	v_accvgpr_read_b32 v223, a10            ;  Reload Reuse
	global_load_dwordx4 v[132:135], v[28:29], off offset:2064
	global_load_dwordx4 v[136:139], v[30:31], off offset:16
	v_lshl_add_u64 v[28:29], v[156:157], 4, s[4:5]
	v_accvgpr_read_b32 v222, a11            ;  Reload Reuse
	v_lshl_add_u64 v[30:31], v[28:29], 0, s[8:9]
	v_add_co_u32_e32 v28, vcc, s10, v28
	v_lshlrev_b32_e32 v156, 1, v222
	s_nop 0
	v_addc_co_u32_e32 v29, vcc, 0, v29, vcc
	global_load_dwordx4 v[140:143], v[28:29], off offset:2064
	global_load_dwordx4 v[144:147], v[30:31], off offset:16
	v_lshl_add_u64 v[28:29], v[156:157], 4, s[4:5]
	v_lshl_add_u64 v[30:31], v[28:29], 0, s[8:9]
	v_add_co_u32_e32 v28, vcc, s10, v28
	v_lshlrev_b32_e32 v156, 1, v246
	s_nop 0
	v_addc_co_u32_e32 v29, vcc, 0, v29, vcc
	global_load_dwordx4 v[148:151], v[28:29], off offset:2064
	global_load_dwordx4 v[152:155], v[30:31], off offset:16
	v_lshl_add_u64 v[28:29], v[156:157], 4, s[4:5]
	;; [unrolled: 8-line block ×4, first 2 shown]
	v_lshl_add_u64 v[30:31], v[28:29], 0, s[8:9]
	v_add_co_u32_e32 v28, vcc, s10, v28
	v_lshlrev_b32_e32 v156, 1, v202
	s_nop 0
	v_addc_co_u32_e32 v29, vcc, 0, v29, vcc
	v_lshl_add_u64 v[104:105], v[156:157], 4, s[4:5]
	global_load_dwordx4 v[180:183], v[28:29], off offset:2064
	global_load_dwordx4 v[184:187], v[30:31], off offset:16
	v_add_co_u32_e32 v28, vcc, s10, v104
	ds_read_b128 v[100:103], v241
	s_nop 0
	v_addc_co_u32_e32 v29, vcc, 0, v105, vcc
	global_load_dwordx4 v[188:191], v[28:29], off offset:2064
	v_lshl_add_u64 v[104:105], v[104:105], 0, s[8:9]
	global_load_dwordx4 v[192:195], v[104:105], off offset:16
	ds_read_b128 v[28:31], v215
	ds_read_b128 v[196:199], v240 offset:25920
	ds_read_b128 v[206:209], v240 offset:27360
	ds_read_b128 v[104:107], v240
	ds_read_b128 v[210:213], v240 offset:41760
	s_waitcnt lgkmcnt(0)
	s_barrier
	s_waitcnt vmcnt(19)
	v_mul_f64 v[158:159], v[94:95], v[110:111]
	v_fmac_f64_e32 v[158:159], v[92:93], v[108:109]
	v_mul_f64 v[92:93], v[92:93], v[110:111]
	v_fma_f64 v[92:93], v[94:95], v[108:109], -v[92:93]
	s_waitcnt vmcnt(18)
	v_mul_f64 v[94:95], v[98:99], v[114:115]
	v_fmac_f64_e32 v[94:95], v[96:97], v[112:113]
	v_mul_f64 v[96:97], v[96:97], v[114:115]
	v_fma_f64 v[96:97], v[98:99], v[112:113], -v[96:97]
	s_waitcnt vmcnt(17)
	v_mul_f64 v[98:99], v[86:87], v[118:119]
	v_fmac_f64_e32 v[98:99], v[84:85], v[116:117]
	v_mul_f64 v[84:85], v[84:85], v[118:119]
	v_fma_f64 v[84:85], v[86:87], v[116:117], -v[84:85]
	s_waitcnt vmcnt(16)
	v_mul_f64 v[86:87], v[82:83], v[122:123]
	v_fmac_f64_e32 v[86:87], v[80:81], v[120:121]
	v_mul_f64 v[80:81], v[80:81], v[122:123]
	v_fma_f64 v[80:81], v[82:83], v[120:121], -v[80:81]
	s_waitcnt vmcnt(15)
	v_mul_f64 v[82:83], v[90:91], v[126:127]
	v_fmac_f64_e32 v[82:83], v[88:89], v[124:125]
	v_mul_f64 v[88:89], v[88:89], v[126:127]
	v_fma_f64 v[90:91], v[90:91], v[124:125], -v[88:89]
	s_waitcnt vmcnt(14)
	v_mul_f64 v[120:121], v[78:79], v[130:131]
	v_fmac_f64_e32 v[120:121], v[76:77], v[128:129]
	v_mul_f64 v[76:77], v[76:77], v[130:131]
	v_fma_f64 v[76:77], v[78:79], v[128:129], -v[76:77]
	s_waitcnt vmcnt(13)
	v_mul_f64 v[78:79], v[74:75], v[134:135]
	v_fmac_f64_e32 v[78:79], v[72:73], v[132:133]
	v_mul_f64 v[72:73], v[72:73], v[134:135]
	v_fma_f64 v[72:73], v[74:75], v[132:133], -v[72:73]
	s_waitcnt vmcnt(12)
	v_mul_f64 v[74:75], v[66:67], v[138:139]
	v_fmac_f64_e32 v[74:75], v[64:65], v[136:137]
	v_mul_f64 v[64:65], v[64:65], v[138:139]
	v_fma_f64 v[64:65], v[66:67], v[136:137], -v[64:65]
	s_waitcnt vmcnt(11)
	v_mul_f64 v[66:67], v[70:71], v[142:143]
	v_fmac_f64_e32 v[66:67], v[68:69], v[140:141]
	v_mul_f64 v[68:69], v[68:69], v[142:143]
	v_fma_f64 v[68:69], v[70:71], v[140:141], -v[68:69]
	s_waitcnt vmcnt(10)
	v_mul_f64 v[70:71], v[58:59], v[146:147]
	v_fmac_f64_e32 v[70:71], v[56:57], v[144:145]
	v_mul_f64 v[56:57], v[56:57], v[146:147]
	v_fma_f64 v[56:57], v[58:59], v[144:145], -v[56:57]
	s_waitcnt vmcnt(9)
	v_mul_f64 v[58:59], v[62:63], v[150:151]
	v_fmac_f64_e32 v[58:59], v[60:61], v[148:149]
	v_mul_f64 v[60:61], v[60:61], v[150:151]
	v_fma_f64 v[60:61], v[62:63], v[148:149], -v[60:61]
	s_waitcnt vmcnt(8)
	v_mul_f64 v[62:63], v[50:51], v[154:155]
	v_fmac_f64_e32 v[62:63], v[48:49], v[152:153]
	v_mul_f64 v[48:49], v[48:49], v[154:155]
	v_fma_f64 v[48:49], v[50:51], v[152:153], -v[48:49]
	s_waitcnt vmcnt(7)
	v_mul_f64 v[50:51], v[54:55], v[166:167]
	v_fmac_f64_e32 v[50:51], v[52:53], v[164:165]
	v_mul_f64 v[52:53], v[52:53], v[166:167]
	v_fma_f64 v[52:53], v[54:55], v[164:165], -v[52:53]
	s_waitcnt vmcnt(6)
	v_mul_f64 v[54:55], v[46:47], v[170:171]
	v_fmac_f64_e32 v[54:55], v[44:45], v[168:169]
	v_mul_f64 v[44:45], v[44:45], v[170:171]
	v_fma_f64 v[44:45], v[46:47], v[168:169], -v[44:45]
	s_waitcnt vmcnt(5)
	v_mul_f64 v[46:47], v[38:39], v[174:175]
	v_fmac_f64_e32 v[46:47], v[36:37], v[172:173]
	v_mul_f64 v[36:37], v[36:37], v[174:175]
	v_fma_f64 v[36:37], v[38:39], v[172:173], -v[36:37]
	s_waitcnt vmcnt(4)
	v_mul_f64 v[38:39], v[42:43], v[178:179]
	v_fmac_f64_e32 v[38:39], v[40:41], v[176:177]
	v_mul_f64 v[40:41], v[40:41], v[178:179]
	v_fma_f64 v[40:41], v[42:43], v[176:177], -v[40:41]
	v_cmp_ne_u32_e32 vcc, 0, v200
	s_waitcnt vmcnt(3)
	v_mul_f64 v[88:89], v[196:197], v[182:183]
	s_waitcnt vmcnt(2)
	v_mul_f64 v[124:125], v[34:35], v[186:187]
	v_fmac_f64_e32 v[124:125], v[32:33], v[184:185]
	v_mul_f64 v[32:33], v[32:33], v[186:187]
	v_fma_f64 v[34:35], v[34:35], v[184:185], -v[32:33]
	v_fma_f64 v[122:123], v[198:199], v[180:181], -v[88:89]
	v_mul_f64 v[42:43], v[198:199], v[182:183]
	s_waitcnt vmcnt(1)
	v_mul_f64 v[32:33], v[206:207], v[190:191]
	v_fma_f64 v[128:129], v[208:209], v[188:189], -v[32:33]
	s_waitcnt vmcnt(0)
	v_mul_f64 v[32:33], v[210:211], v[194:195]
	v_fma_f64 v[132:133], v[212:213], v[192:193], -v[32:33]
	v_add_f64 v[32:33], v[104:105], v[158:159]
	v_add_f64 v[116:117], v[32:33], v[94:95]
	v_add_f64 v[32:33], v[158:159], v[94:95]
	v_fmac_f64_e32 v[104:105], -0.5, v[32:33]
	v_add_f64 v[32:33], v[92:93], -v[96:97]
	v_fma_f64 v[108:109], s[2:3], v[32:33], v[104:105]
	v_fmac_f64_e32 v[104:105], s[6:7], v[32:33]
	v_add_f64 v[32:33], v[106:107], v[92:93]
	v_add_f64 v[118:119], v[32:33], v[96:97]
	v_add_f64 v[32:33], v[92:93], v[96:97]
	v_fmac_f64_e32 v[106:107], -0.5, v[32:33]
	v_add_f64 v[32:33], v[158:159], -v[94:95]
	v_fma_f64 v[110:111], s[6:7], v[32:33], v[106:107]
	v_fmac_f64_e32 v[106:107], s[2:3], v[32:33]
	;; [unrolled: 7-line block ×15, first 2 shown]
	v_add_f64 v[32:33], v[6:7], v[36:37]
	v_add_f64 v[54:55], v[32:33], v[40:41]
	;; [unrolled: 1-line block ×3, first 2 shown]
	v_fmac_f64_e32 v[42:43], v[196:197], v[180:181]
	v_fmac_f64_e32 v[6:7], -0.5, v[32:33]
	v_add_f64 v[32:33], v[46:47], -v[38:39]
	v_fma_f64 v[50:51], s[6:7], v[32:33], v[6:7]
	v_fmac_f64_e32 v[6:7], s[2:3], v[32:33]
	v_add_f64 v[32:33], v[0:1], v[42:43]
	v_add_f64 v[36:37], v[32:33], v[124:125]
	;; [unrolled: 1-line block ×3, first 2 shown]
	v_fmac_f64_e32 v[0:1], -0.5, v[32:33]
	v_add_f64 v[38:39], v[122:123], -v[34:35]
	v_fma_f64 v[32:33], s[2:3], v[38:39], v[0:1]
	v_fmac_f64_e32 v[0:1], s[6:7], v[38:39]
	v_add_f64 v[38:39], v[2:3], v[122:123]
	v_mul_f64 v[126:127], v[208:209], v[190:191]
	v_add_f64 v[38:39], v[38:39], v[34:35]
	v_add_f64 v[34:35], v[122:123], v[34:35]
	v_fmac_f64_e32 v[126:127], v[206:207], v[188:189]
	v_mul_f64 v[130:131], v[212:213], v[194:195]
	v_fmac_f64_e32 v[2:3], -0.5, v[34:35]
	v_add_f64 v[40:41], v[42:43], -v[124:125]
	v_fmac_f64_e32 v[130:131], v[210:211], v[192:193]
	v_fma_f64 v[34:35], s[6:7], v[40:41], v[2:3]
	v_fmac_f64_e32 v[2:3], s[2:3], v[40:41]
	v_add_f64 v[40:41], v[28:29], v[126:127]
	v_add_f64 v[44:45], v[40:41], v[130:131]
	;; [unrolled: 1-line block ×3, first 2 shown]
	v_fmac_f64_e32 v[28:29], -0.5, v[40:41]
	v_add_f64 v[42:43], v[128:129], -v[132:133]
	v_fma_f64 v[40:41], s[2:3], v[42:43], v[28:29]
	v_fmac_f64_e32 v[28:29], s[6:7], v[42:43]
	v_add_f64 v[42:43], v[30:31], v[128:129]
	v_add_f64 v[46:47], v[42:43], v[132:133]
	;; [unrolled: 1-line block ×3, first 2 shown]
	ds_write_b128 v240, v[116:119]
	ds_write_b128 v240, v[108:111] offset:14400
	ds_write_b128 v240, v[104:107] offset:28800
	ds_write_b128 v247, v[112:115]
	ds_write_b128 v247, v[96:99] offset:14400
	ds_write_b128 v247, v[24:27] offset:28800
	;; [unrolled: 3-line block ×3, first 2 shown]
	v_accvgpr_read_b32 v20, a8
	v_fmac_f64_e32 v[30:31], -0.5, v[42:43]
	v_add_f64 v[120:121], v[126:127], -v[130:131]
	ds_write_b128 v20, v[84:87]
	ds_write_b128 v20, v[80:83] offset:14400
	v_accvgpr_read_b32 v80, a8
	v_fma_f64 v[42:43], s[6:7], v[120:121], v[30:31]
	v_fmac_f64_e32 v[30:31], s[2:3], v[120:121]
	ds_write_b128 v80, v[16:19] offset:28800
	ds_write_b128 v163, v[76:79]
	ds_write_b128 v163, v[72:75] offset:14400
	ds_write_b128 v163, v[12:15] offset:28800
	ds_write_b128 v162, v[68:71]
	ds_write_b128 v162, v[64:67] offset:14400
	;; [unrolled: 3-line block ×6, first 2 shown]
	ds_write_b128 v215, v[28:31] offset:28800
	s_waitcnt lgkmcnt(0)
	s_barrier
	ds_read_b128 v[0:3], v240
	s_add_u32 s2, s4, 0xa890
	v_accvgpr_read_b32 v4, a3
	s_addc_u32 s3, s5, 0
	v_sub_u32_e32 v16, 0, v4
	v_mov_b32_e32 v156, v215
                                        ; implicit-def: $vgpr6_vgpr7
                                        ; implicit-def: $vgpr8_vgpr9
	s_and_saveexec_b64 s[4:5], vcc
	s_xor_b64 s[4:5], exec, s[4:5]
	s_cbranch_execz .LBB0_15
; %bb.14:
	v_mov_b32_e32 v201, v157
	v_lshl_add_u64 v[4:5], v[200:201], 4, s[2:3]
	global_load_dwordx4 v[6:9], v[4:5], off
	ds_read_b128 v[10:13], v16 offset:43200
	s_waitcnt lgkmcnt(0)
	v_add_f64 v[4:5], v[0:1], v[10:11]
	v_add_f64 v[0:1], v[0:1], -v[10:11]
	v_mul_f64 v[0:1], v[0:1], 0.5
	v_add_f64 v[14:15], v[2:3], v[12:13]
	v_add_f64 v[2:3], v[2:3], -v[12:13]
	v_mul_f64 v[10:11], v[14:15], 0.5
	v_mul_f64 v[2:3], v[2:3], 0.5
	s_waitcnt vmcnt(0)
	v_mul_f64 v[12:13], v[0:1], v[8:9]
	v_fma_f64 v[18:19], 0.5, v[4:5], v[12:13]
	v_fma_f64 v[14:15], v[10:11], v[8:9], v[2:3]
	v_fma_f64 v[2:3], v[10:11], v[8:9], -v[2:3]
	v_fma_f64 v[4:5], v[4:5], 0.5, -v[12:13]
	v_fmac_f64_e32 v[18:19], v[10:11], v[6:7]
	v_fma_f64 v[8:9], -v[6:7], v[0:1], v[14:15]
	v_fma_f64 v[4:5], -v[10:11], v[6:7], v[4:5]
	ds_write_b64 v240, v[18:19]
	v_fma_f64 v[6:7], -v[6:7], v[0:1], v[2:3]
                                        ; implicit-def: $vgpr0_vgpr1
.LBB0_15:
	s_or_saveexec_b64 s[4:5], s[4:5]
	v_accvgpr_read_b32 v10, a6
	v_sub_u32_e32 v18, 0, v10
	v_accvgpr_read_b32 v10, a5
	v_sub_u32_e32 v17, 0, v10
	s_xor_b64 exec, exec, s[4:5]
	s_cbranch_execz .LBB0_17
; %bb.16:
	v_mov_b32_e32 v12, 0
	ds_read_b64 v[6:7], v12 offset:21608
	v_mov_b64_e32 v[8:9], 0
	s_waitcnt lgkmcnt(1)
	v_add_f64 v[10:11], v[0:1], v[2:3]
	v_add_f64 v[4:5], v[0:1], -v[2:3]
	ds_write_b64 v240, v[10:11]
	s_waitcnt lgkmcnt(1)
	v_xor_b32_e32 v7, 0x80000000, v7
	ds_write_b64 v12, v[6:7] offset:21608
	v_mov_b64_e32 v[6:7], v[8:9]
.LBB0_17:
	s_or_b64 exec, exec, s[4:5]
	v_mov_b32_e32 v205, 0
	s_waitcnt lgkmcnt(0)
	v_lshl_add_u64 v[0:1], v[204:205], 4, s[2:3]
	global_load_dwordx4 v[10:13], v[0:1], off
	v_mov_b32_e32 v221, v205
	v_lshl_add_u64 v[0:1], v[220:221], 4, s[2:3]
	global_load_dwordx4 v[20:23], v[0:1], off
	v_mov_b32_e32 v219, v205
	;; [unrolled: 3-line block ×3, first 2 shown]
	ds_write_b64 v240, v[8:9] offset:8
	ds_write_b128 v16, v[4:7] offset:43200
	v_lshl_add_u64 v[4:5], v[224:225], 4, s[2:3]
	ds_read_b128 v[24:27], v247
	ds_read_b128 v[28:31], v16 offset:41760
	global_load_dwordx4 v[4:7], v[4:5], off
	v_mov_b32_e32 v223, v205
	v_mov_b32_e32 v215, v205
	;; [unrolled: 1-line block ×3, first 2 shown]
	s_waitcnt lgkmcnt(0)
	v_add_f64 v[8:9], v[24:25], v[28:29]
	v_add_f64 v[24:25], v[24:25], -v[28:29]
	v_add_f64 v[14:15], v[26:27], v[30:31]
	v_add_f64 v[26:27], v[26:27], -v[30:31]
	v_mul_f64 v[24:25], v[24:25], 0.5
	v_mul_f64 v[28:29], v[14:15], 0.5
	;; [unrolled: 1-line block ×3, first 2 shown]
	v_add_u32_e32 v204, 0x384, v200
	s_waitcnt vmcnt(3)
	v_mul_f64 v[26:27], v[24:25], v[12:13]
	v_fma_f64 v[30:31], v[28:29], v[12:13], v[14:15]
	v_fma_f64 v[32:33], v[28:29], v[12:13], -v[14:15]
	v_fma_f64 v[12:13], 0.5, v[8:9], v[26:27]
	v_fma_f64 v[14:15], -v[10:11], v[24:25], v[30:31]
	v_fma_f64 v[8:9], v[8:9], 0.5, -v[26:27]
	v_fmac_f64_e32 v[12:13], v[28:29], v[10:11]
	v_fma_f64 v[26:27], -v[10:11], v[24:25], v[32:33]
	v_fma_f64 v[24:25], -v[28:29], v[10:11], v[8:9]
	ds_write_b128 v247, v[12:15]
	ds_write_b128 v16, v[24:27] offset:41760
	v_lshl_add_u64 v[12:13], v[222:223], 4, s[2:3]
	ds_read_b128 v[8:11], v217
	ds_read_b128 v[24:27], v16 offset:40320
	global_load_dwordx4 v[12:15], v[12:13], off
	v_mov_b32_e32 v247, v205
	s_waitcnt lgkmcnt(0)
	v_add_f64 v[28:29], v[8:9], v[24:25]
	v_add_f64 v[8:9], v[8:9], -v[24:25]
	v_add_f64 v[30:31], v[10:11], v[26:27]
	v_add_f64 v[10:11], v[10:11], -v[26:27]
	v_mul_f64 v[26:27], v[8:9], 0.5
	v_mul_f64 v[24:25], v[30:31], 0.5
	;; [unrolled: 1-line block ×3, first 2 shown]
	s_waitcnt vmcnt(3)
	v_mul_f64 v[30:31], v[26:27], v[22:23]
	v_fma_f64 v[10:11], v[24:25], v[22:23], v[8:9]
	v_fma_f64 v[22:23], v[24:25], v[22:23], -v[8:9]
	v_fma_f64 v[8:9], 0.5, v[28:29], v[30:31]
	v_fma_f64 v[10:11], -v[20:21], v[26:27], v[10:11]
	v_fma_f64 v[28:29], v[28:29], 0.5, -v[30:31]
	v_fmac_f64_e32 v[8:9], v[24:25], v[20:21]
	v_fma_f64 v[22:23], -v[20:21], v[26:27], v[22:23]
	v_fma_f64 v[20:21], -v[24:25], v[20:21], v[28:29]
	ds_write_b128 v217, v[8:11]
	ds_write_b128 v16, v[20:23] offset:40320
	v_lshl_add_u64 v[8:9], v[246:247], 4, s[2:3]
	ds_read_b128 v[20:23], v80
	ds_read_b128 v[24:27], v16 offset:38880
	global_load_dwordx4 v[8:11], v[8:9], off
	v_mov_b32_e32 v217, v205
	s_waitcnt lgkmcnt(0)
	v_add_f64 v[28:29], v[20:21], v[24:25]
	v_add_f64 v[20:21], v[20:21], -v[24:25]
	v_add_f64 v[30:31], v[22:23], v[26:27]
	v_add_f64 v[22:23], v[22:23], -v[26:27]
	v_mul_f64 v[26:27], v[20:21], 0.5
	v_mul_f64 v[24:25], v[30:31], 0.5
	;; [unrolled: 1-line block ×3, first 2 shown]
	s_waitcnt vmcnt(3)
	v_mul_f64 v[30:31], v[26:27], v[2:3]
	v_fma_f64 v[22:23], v[24:25], v[2:3], v[20:21]
	v_fma_f64 v[2:3], v[24:25], v[2:3], -v[20:21]
	v_fma_f64 v[20:21], 0.5, v[28:29], v[30:31]
	v_fma_f64 v[22:23], -v[0:1], v[26:27], v[22:23]
	v_fma_f64 v[28:29], v[28:29], 0.5, -v[30:31]
	v_fmac_f64_e32 v[20:21], v[24:25], v[0:1]
	v_fma_f64 v[2:3], -v[0:1], v[26:27], v[2:3]
	v_fma_f64 v[0:1], -v[24:25], v[0:1], v[28:29]
	ds_write_b128 v80, v[20:23]
	ds_write_b128 v16, v[0:3] offset:38880
	ds_read_b128 v[20:23], v163
	ds_read_b128 v[24:27], v16 offset:37440
	v_lshl_add_u64 v[0:1], v[216:217], 4, s[2:3]
	global_load_dwordx4 v[0:3], v[0:1], off
	s_waitcnt lgkmcnt(0)
	v_add_f64 v[28:29], v[20:21], v[24:25]
	v_add_f64 v[20:21], v[20:21], -v[24:25]
	v_add_f64 v[30:31], v[22:23], v[26:27]
	v_add_f64 v[22:23], v[22:23], -v[26:27]
	v_mul_f64 v[26:27], v[20:21], 0.5
	v_mul_f64 v[24:25], v[30:31], 0.5
	;; [unrolled: 1-line block ×3, first 2 shown]
	s_waitcnt vmcnt(3)
	v_mul_f64 v[30:31], v[26:27], v[6:7]
	v_fma_f64 v[22:23], v[24:25], v[6:7], v[20:21]
	v_fma_f64 v[6:7], v[24:25], v[6:7], -v[20:21]
	v_fma_f64 v[20:21], 0.5, v[28:29], v[30:31]
	v_fma_f64 v[22:23], -v[4:5], v[26:27], v[22:23]
	v_fma_f64 v[28:29], v[28:29], 0.5, -v[30:31]
	v_fmac_f64_e32 v[20:21], v[24:25], v[4:5]
	v_fma_f64 v[6:7], -v[4:5], v[26:27], v[6:7]
	v_fma_f64 v[4:5], -v[24:25], v[4:5], v[28:29]
	ds_write_b128 v163, v[20:23]
	ds_write_b128 v16, v[4:7] offset:37440
	ds_read_b128 v[20:23], v162
	ds_read_b128 v[24:27], v16 offset:36000
	v_accvgpr_read_b32 v4, a4
	v_add_u32_e32 v32, v4, v18
	v_lshl_add_u64 v[4:5], v[214:215], 4, s[2:3]
	global_load_dwordx4 v[4:7], v[4:5], off
	s_waitcnt lgkmcnt(0)
	v_add_f64 v[28:29], v[20:21], v[24:25]
	v_add_f64 v[20:21], v[20:21], -v[24:25]
	v_add_f64 v[18:19], v[22:23], v[26:27]
	v_add_f64 v[22:23], v[22:23], -v[26:27]
	v_mul_f64 v[26:27], v[20:21], 0.5
	v_mul_f64 v[24:25], v[18:19], 0.5
	v_mul_f64 v[18:19], v[22:23], 0.5
	s_waitcnt vmcnt(3)
	v_mul_f64 v[22:23], v[26:27], v[14:15]
	v_fma_f64 v[20:21], v[24:25], v[14:15], v[18:19]
	v_fma_f64 v[14:15], v[24:25], v[14:15], -v[18:19]
	v_fma_f64 v[18:19], 0.5, v[28:29], v[22:23]
	v_fma_f64 v[20:21], -v[12:13], v[26:27], v[20:21]
	v_fma_f64 v[22:23], v[28:29], 0.5, -v[22:23]
	v_fmac_f64_e32 v[18:19], v[24:25], v[12:13]
	v_fma_f64 v[14:15], -v[12:13], v[26:27], v[14:15]
	v_fma_f64 v[12:13], -v[24:25], v[12:13], v[22:23]
	ds_write_b128 v162, v[18:21]
	ds_write_b128 v16, v[12:15] offset:36000
	ds_read_b128 v[12:15], v32
	ds_read_b128 v[18:21], v16 offset:34560
	s_waitcnt lgkmcnt(0)
	v_add_f64 v[22:23], v[12:13], v[18:19]
	v_add_f64 v[12:13], v[12:13], -v[18:19]
	v_add_f64 v[24:25], v[14:15], v[20:21]
	v_add_f64 v[14:15], v[14:15], -v[20:21]
	v_mul_f64 v[26:27], v[12:13], 0.5
	v_lshl_add_u64 v[12:13], v[202:203], 4, s[2:3]
	v_mul_f64 v[24:25], v[24:25], 0.5
	v_mul_f64 v[28:29], v[14:15], 0.5
	global_load_dwordx4 v[12:15], v[12:13], off
	s_waitcnt vmcnt(3)
	v_mul_f64 v[30:31], v[26:27], v[10:11]
	v_fma_f64 v[18:19], 0.5, v[22:23], v[30:31]
	v_fma_f64 v[20:21], v[24:25], v[10:11], v[28:29]
	v_fmac_f64_e32 v[18:19], v[24:25], v[8:9]
	v_fma_f64 v[20:21], -v[8:9], v[26:27], v[20:21]
	ds_write_b128 v32, v[18:21]
	v_fma_f64 v[18:19], v[22:23], 0.5, -v[30:31]
	v_fma_f64 v[10:11], v[24:25], v[10:11], -v[28:29]
	v_fma_f64 v[18:19], -v[24:25], v[8:9], v[18:19]
	v_fma_f64 v[20:21], -v[8:9], v[26:27], v[10:11]
	ds_write_b128 v16, v[18:21] offset:34560
	ds_read_b128 v[18:21], v161
	ds_read_b128 v[22:25], v16 offset:33120
	s_waitcnt lgkmcnt(0)
	v_add_f64 v[8:9], v[20:21], v[24:25]
	v_mul_f64 v[28:29], v[8:9], 0.5
	v_lshl_add_u64 v[8:9], v[204:205], 4, s[2:3]
	global_load_dwordx4 v[8:11], v[8:9], off
	v_add_f64 v[26:27], v[18:19], v[22:23]
	v_add_f64 v[18:19], v[18:19], -v[22:23]
	v_add_f64 v[20:21], v[20:21], -v[24:25]
	v_mul_f64 v[22:23], v[18:19], 0.5
	v_mul_f64 v[24:25], v[20:21], 0.5
	s_waitcnt vmcnt(3)
	v_mul_f64 v[30:31], v[22:23], v[2:3]
	v_fma_f64 v[18:19], 0.5, v[26:27], v[30:31]
	v_fma_f64 v[20:21], v[28:29], v[2:3], v[24:25]
	v_fmac_f64_e32 v[18:19], v[28:29], v[0:1]
	v_fma_f64 v[20:21], -v[0:1], v[22:23], v[20:21]
	ds_write_b128 v161, v[18:21]
	v_fma_f64 v[18:19], v[26:27], 0.5, -v[30:31]
	v_fma_f64 v[2:3], v[28:29], v[2:3], -v[24:25]
	v_fma_f64 v[18:19], -v[28:29], v[0:1], v[18:19]
	v_fma_f64 v[20:21], -v[0:1], v[22:23], v[2:3]
	v_add_u32_e32 v204, 0x3de, v200
	ds_write_b128 v16, v[18:21] offset:33120
	v_lshl_add_u64 v[0:1], v[204:205], 4, s[2:3]
	ds_read_b128 v[18:21], v160
	ds_read_b128 v[22:25], v16 offset:31680
	global_load_dwordx4 v[0:3], v[0:1], off
	v_add_u32_e32 v204, 0x438, v200
	s_waitcnt lgkmcnt(0)
	v_add_f64 v[26:27], v[18:19], v[22:23]
	v_add_f64 v[18:19], v[18:19], -v[22:23]
	v_add_f64 v[28:29], v[20:21], v[24:25]
	v_add_f64 v[20:21], v[20:21], -v[24:25]
	v_mul_f64 v[22:23], v[18:19], 0.5
	v_mul_f64 v[28:29], v[28:29], 0.5
	;; [unrolled: 1-line block ×3, first 2 shown]
	s_waitcnt vmcnt(3)
	v_mul_f64 v[30:31], v[22:23], v[6:7]
	v_fma_f64 v[18:19], 0.5, v[26:27], v[30:31]
	v_fma_f64 v[20:21], v[28:29], v[6:7], v[24:25]
	v_fmac_f64_e32 v[18:19], v[28:29], v[4:5]
	v_fma_f64 v[20:21], -v[4:5], v[22:23], v[20:21]
	ds_write_b128 v160, v[18:21]
	v_fma_f64 v[18:19], v[26:27], 0.5, -v[30:31]
	v_fma_f64 v[6:7], v[28:29], v[6:7], -v[24:25]
	v_fma_f64 v[18:19], -v[28:29], v[4:5], v[18:19]
	v_fma_f64 v[20:21], -v[4:5], v[22:23], v[6:7]
	v_accvgpr_read_b32 v4, a2
	ds_write_b128 v16, v[18:21] offset:31680
	v_add_u32_e32 v17, v4, v17
	v_lshl_add_u64 v[22:23], v[204:205], 4, s[2:3]
	ds_read_b128 v[4:7], v17
	ds_read_b128 v[18:21], v16 offset:30240
	global_load_dwordx4 v[22:25], v[22:23], off
	v_add_u32_e32 v204, 0x492, v200
	s_waitcnt lgkmcnt(0)
	v_add_f64 v[26:27], v[4:5], v[18:19]
	v_add_f64 v[4:5], v[4:5], -v[18:19]
	v_add_f64 v[28:29], v[6:7], v[20:21]
	v_add_f64 v[6:7], v[6:7], -v[20:21]
	v_mul_f64 v[18:19], v[4:5], 0.5
	v_mul_f64 v[28:29], v[28:29], 0.5
	;; [unrolled: 1-line block ×3, first 2 shown]
	s_waitcnt vmcnt(3)
	v_mul_f64 v[30:31], v[18:19], v[14:15]
	v_fma_f64 v[4:5], 0.5, v[26:27], v[30:31]
	v_fma_f64 v[6:7], v[28:29], v[14:15], v[20:21]
	v_fmac_f64_e32 v[4:5], v[28:29], v[12:13]
	v_fma_f64 v[6:7], -v[12:13], v[18:19], v[6:7]
	ds_write_b128 v17, v[4:7]
	v_fma_f64 v[4:5], v[26:27], 0.5, -v[30:31]
	v_fma_f64 v[6:7], v[28:29], v[14:15], -v[20:21]
	v_fma_f64 v[4:5], -v[28:29], v[12:13], v[4:5]
	v_fma_f64 v[6:7], -v[12:13], v[18:19], v[6:7]
	ds_write_b128 v16, v[4:7] offset:30240
	v_lshl_add_u64 v[18:19], v[204:205], 4, s[2:3]
	ds_read_b128 v[4:7], v240 offset:14400
	ds_read_b128 v[12:15], v16 offset:28800
	global_load_dwordx4 v[18:21], v[18:19], off
	v_add_u32_e32 v204, 0x4ec, v200
	s_waitcnt lgkmcnt(0)
	v_add_f64 v[26:27], v[4:5], v[12:13]
	v_add_f64 v[4:5], v[4:5], -v[12:13]
	v_add_f64 v[28:29], v[6:7], v[14:15]
	v_add_f64 v[6:7], v[6:7], -v[14:15]
	v_mul_f64 v[12:13], v[4:5], 0.5
	v_mul_f64 v[28:29], v[28:29], 0.5
	;; [unrolled: 1-line block ×3, first 2 shown]
	s_waitcnt vmcnt(3)
	v_mul_f64 v[30:31], v[12:13], v[10:11]
	v_fma_f64 v[4:5], 0.5, v[26:27], v[30:31]
	v_fma_f64 v[6:7], v[28:29], v[10:11], v[14:15]
	v_fmac_f64_e32 v[4:5], v[28:29], v[8:9]
	v_fma_f64 v[6:7], -v[8:9], v[12:13], v[6:7]
	ds_write_b128 v240, v[4:7] offset:14400
	v_fma_f64 v[4:5], v[26:27], 0.5, -v[30:31]
	v_fma_f64 v[6:7], v[28:29], v[10:11], -v[14:15]
	v_fma_f64 v[4:5], -v[28:29], v[8:9], v[4:5]
	v_fma_f64 v[6:7], -v[8:9], v[12:13], v[6:7]
	ds_write_b128 v16, v[4:7] offset:28800
	v_lshl_add_u64 v[12:13], v[204:205], 4, s[2:3]
	ds_read_b128 v[4:7], v240 offset:15840
	ds_read_b128 v[8:11], v16 offset:27360
	global_load_dwordx4 v[12:15], v[12:13], off
	s_waitcnt lgkmcnt(0)
	v_add_f64 v[26:27], v[4:5], v[8:9]
	v_add_f64 v[4:5], v[4:5], -v[8:9]
	v_add_f64 v[28:29], v[6:7], v[10:11]
	v_add_f64 v[6:7], v[6:7], -v[10:11]
	v_mul_f64 v[8:9], v[4:5], 0.5
	v_mul_f64 v[28:29], v[28:29], 0.5
	v_mul_f64 v[10:11], v[6:7], 0.5
	s_waitcnt vmcnt(3)
	v_mul_f64 v[30:31], v[8:9], v[2:3]
	v_fma_f64 v[4:5], 0.5, v[26:27], v[30:31]
	v_fma_f64 v[6:7], v[28:29], v[2:3], v[10:11]
	v_fmac_f64_e32 v[4:5], v[28:29], v[0:1]
	v_fma_f64 v[6:7], -v[0:1], v[8:9], v[6:7]
	ds_write_b128 v240, v[4:7] offset:15840
	v_fma_f64 v[4:5], v[26:27], 0.5, -v[30:31]
	v_fma_f64 v[2:3], v[28:29], v[2:3], -v[10:11]
	v_fma_f64 v[4:5], -v[28:29], v[0:1], v[4:5]
	v_fma_f64 v[6:7], -v[0:1], v[8:9], v[2:3]
	ds_write_b128 v16, v[4:7] offset:27360
	ds_read_b128 v[0:3], v240 offset:17280
	ds_read_b128 v[4:7], v16 offset:25920
	s_waitcnt lgkmcnt(0)
	v_add_f64 v[8:9], v[0:1], v[4:5]
	v_add_f64 v[0:1], v[0:1], -v[4:5]
	v_add_f64 v[10:11], v[2:3], v[6:7]
	v_add_f64 v[2:3], v[2:3], -v[6:7]
	v_mul_f64 v[4:5], v[0:1], 0.5
	v_mul_f64 v[10:11], v[10:11], 0.5
	v_mul_f64 v[6:7], v[2:3], 0.5
	s_waitcnt vmcnt(2)
	v_mul_f64 v[26:27], v[4:5], v[24:25]
	v_fma_f64 v[0:1], 0.5, v[8:9], v[26:27]
	v_fma_f64 v[2:3], v[10:11], v[24:25], v[6:7]
	v_fmac_f64_e32 v[0:1], v[10:11], v[22:23]
	v_fma_f64 v[2:3], -v[22:23], v[4:5], v[2:3]
	ds_write_b128 v240, v[0:3] offset:17280
	v_fma_f64 v[0:1], v[8:9], 0.5, -v[26:27]
	v_fma_f64 v[2:3], v[10:11], v[24:25], -v[6:7]
	v_fma_f64 v[0:1], -v[10:11], v[22:23], v[0:1]
	v_fma_f64 v[2:3], -v[22:23], v[4:5], v[2:3]
	ds_write_b128 v16, v[0:3] offset:25920
	ds_read_b128 v[0:3], v240 offset:18720
	ds_read_b128 v[4:7], v16 offset:24480
	;; [unrolled: 22-line block ×3, first 2 shown]
	s_waitcnt lgkmcnt(0)
	v_add_f64 v[8:9], v[0:1], v[4:5]
	v_add_f64 v[0:1], v[0:1], -v[4:5]
	v_add_f64 v[10:11], v[2:3], v[6:7]
	v_add_f64 v[2:3], v[2:3], -v[6:7]
	v_mul_f64 v[4:5], v[0:1], 0.5
	v_mul_f64 v[10:11], v[10:11], 0.5
	;; [unrolled: 1-line block ×3, first 2 shown]
	s_waitcnt vmcnt(0)
	v_mul_f64 v[18:19], v[4:5], v[14:15]
	v_fma_f64 v[0:1], 0.5, v[8:9], v[18:19]
	v_fma_f64 v[2:3], v[10:11], v[14:15], v[6:7]
	v_fmac_f64_e32 v[0:1], v[10:11], v[12:13]
	v_fma_f64 v[2:3], -v[12:13], v[4:5], v[2:3]
	ds_write_b128 v240, v[0:3] offset:20160
	v_fma_f64 v[0:1], v[8:9], 0.5, -v[18:19]
	v_fma_f64 v[2:3], v[10:11], v[14:15], -v[6:7]
	v_fma_f64 v[0:1], -v[10:11], v[12:13], v[0:1]
	v_fma_f64 v[2:3], -v[12:13], v[4:5], v[2:3]
	ds_write_b128 v16, v[0:3] offset:23040
	s_waitcnt lgkmcnt(0)
	s_barrier
	s_and_saveexec_b64 s[2:3], s[0:1]
	s_cbranch_execz .LBB0_20
; %bb.18:
	ds_read_b128 v[0:3], v240
	ds_read_b128 v[4:7], v240 offset:1440
	ds_read_b128 v[8:11], v240 offset:2880
	v_accvgpr_read_b32 v13, a1
	v_mov_b32_e32 v201, v205
	v_accvgpr_read_b32 v12, a0
	v_lshl_add_u64 v[16:17], v[200:201], 4, v[12:13]
	ds_read_b128 v[12:15], v240 offset:41760
	s_waitcnt lgkmcnt(3)
	global_store_dwordx4 v[16:17], v[0:3], off
	s_waitcnt lgkmcnt(2)
	global_store_dwordx4 v[16:17], v[4:7], off offset:1440
	s_waitcnt lgkmcnt(1)
	global_store_dwordx4 v[16:17], v[8:11], off offset:2880
	ds_read_b128 v[0:3], v240 offset:4320
	ds_read_b128 v[4:7], v240 offset:5760
	;; [unrolled: 1-line block ×3, first 2 shown]
	v_add_co_u32_e32 v18, vcc, 0x1000, v16
	s_movk_i32 s0, 0x59
	s_nop 0
	v_addc_co_u32_e32 v19, vcc, 0, v17, vcc
	s_waitcnt lgkmcnt(2)
	global_store_dwordx4 v[18:19], v[0:3], off offset:224
	s_waitcnt lgkmcnt(1)
	global_store_dwordx4 v[18:19], v[4:7], off offset:1664
	s_waitcnt lgkmcnt(0)
	global_store_dwordx4 v[18:19], v[8:11], off offset:3104
	ds_read_b128 v[0:3], v240 offset:8640
	ds_read_b128 v[4:7], v240 offset:10080
	ds_read_b128 v[8:11], v240 offset:11520
	v_add_co_u32_e32 v18, vcc, 0x2000, v16
	s_nop 1
	v_addc_co_u32_e32 v19, vcc, 0, v17, vcc
	s_waitcnt lgkmcnt(2)
	global_store_dwordx4 v[18:19], v[0:3], off offset:448
	s_waitcnt lgkmcnt(1)
	global_store_dwordx4 v[18:19], v[4:7], off offset:1888
	s_waitcnt lgkmcnt(0)
	global_store_dwordx4 v[18:19], v[8:11], off offset:3328
	ds_read_b128 v[0:3], v240 offset:12960
	ds_read_b128 v[4:7], v240 offset:14400
	ds_read_b128 v[8:11], v240 offset:15840
	v_add_co_u32_e32 v18, vcc, 0x3000, v16
	;; [unrolled: 12-line block ×4, first 2 shown]
	s_nop 1
	v_addc_co_u32_e32 v19, vcc, 0, v17, vcc
	s_waitcnt lgkmcnt(2)
	global_store_dwordx4 v[18:19], v[0:3], off offset:1120
	s_waitcnt lgkmcnt(1)
	global_store_dwordx4 v[18:19], v[4:7], off offset:2560
	ds_read_b128 v[0:3], v240 offset:25920
	ds_read_b128 v[4:7], v240 offset:27360
	s_waitcnt lgkmcnt(2)
	global_store_dwordx4 v[18:19], v[8:11], off offset:4000
	s_nop 1
	v_add_co_u32_e32 v8, vcc, 0x6000, v16
	s_nop 1
	v_addc_co_u32_e32 v9, vcc, 0, v17, vcc
	s_waitcnt lgkmcnt(1)
	global_store_dwordx4 v[8:9], v[0:3], off offset:1344
	s_waitcnt lgkmcnt(0)
	global_store_dwordx4 v[8:9], v[4:7], off offset:2784
	ds_read_b128 v[0:3], v240 offset:28800
	ds_read_b128 v[4:7], v240 offset:30240
	ds_read_b128 v[8:11], v240 offset:31680
	v_add_co_u32_e32 v18, vcc, 0x7000, v16
	s_nop 1
	v_addc_co_u32_e32 v19, vcc, 0, v17, vcc
	s_waitcnt lgkmcnt(2)
	global_store_dwordx4 v[18:19], v[0:3], off offset:128
	s_waitcnt lgkmcnt(1)
	global_store_dwordx4 v[18:19], v[4:7], off offset:1568
	s_waitcnt lgkmcnt(0)
	global_store_dwordx4 v[18:19], v[8:11], off offset:3008
	ds_read_b128 v[0:3], v240 offset:33120
	ds_read_b128 v[4:7], v240 offset:34560
	ds_read_b128 v[8:11], v240 offset:36000
	v_add_co_u32_e32 v18, vcc, 0x8000, v16
	s_nop 1
	v_addc_co_u32_e32 v19, vcc, 0, v17, vcc
	s_waitcnt lgkmcnt(2)
	global_store_dwordx4 v[18:19], v[0:3], off offset:352
	;; [unrolled: 12-line block ×3, first 2 shown]
	s_waitcnt lgkmcnt(1)
	global_store_dwordx4 v[18:19], v[4:7], off offset:2016
	s_waitcnt lgkmcnt(0)
	global_store_dwordx4 v[18:19], v[8:11], off offset:3456
	v_add_co_u32_e32 v0, vcc, 0xa000, v16
	s_nop 1
	v_addc_co_u32_e32 v1, vcc, 0, v17, vcc
	v_cmp_eq_u32_e32 vcc, s0, v200
	global_store_dwordx4 v[0:1], v[12:15], off offset:800
	s_and_b64 exec, exec, vcc
	s_cbranch_execz .LBB0_20
; %bb.19:
	v_mov_b32_e32 v0, 0
	ds_read_b128 v[0:3], v0 offset:43200
	v_accvgpr_read_b32 v5, a1
	v_accvgpr_read_b32 v4, a0
	v_add_co_u32_e32 v4, vcc, 0xa000, v4
	s_nop 1
	v_addc_co_u32_e32 v5, vcc, 0, v5, vcc
	s_waitcnt lgkmcnt(0)
	global_store_dwordx4 v[4:5], v[0:3], off offset:2240
.LBB0_20:
	s_endpgm
	.section	.rodata,"a",@progbits
	.p2align	6, 0x0
	.amdhsa_kernel fft_rtc_back_len2700_factors_3_10_10_3_3_wgs_90_tpt_90_halfLds_dp_ip_CI_unitstride_sbrr_R2C_dirReg
		.amdhsa_group_segment_fixed_size 0
		.amdhsa_private_segment_fixed_size 0
		.amdhsa_kernarg_size 88
		.amdhsa_user_sgpr_count 2
		.amdhsa_user_sgpr_dispatch_ptr 0
		.amdhsa_user_sgpr_queue_ptr 0
		.amdhsa_user_sgpr_kernarg_segment_ptr 1
		.amdhsa_user_sgpr_dispatch_id 0
		.amdhsa_user_sgpr_kernarg_preload_length 0
		.amdhsa_user_sgpr_kernarg_preload_offset 0
		.amdhsa_user_sgpr_private_segment_size 0
		.amdhsa_uses_dynamic_stack 0
		.amdhsa_enable_private_segment 0
		.amdhsa_system_sgpr_workgroup_id_x 1
		.amdhsa_system_sgpr_workgroup_id_y 0
		.amdhsa_system_sgpr_workgroup_id_z 0
		.amdhsa_system_sgpr_workgroup_info 0
		.amdhsa_system_vgpr_workitem_id 0
		.amdhsa_next_free_vgpr 268
		.amdhsa_next_free_sgpr 25
		.amdhsa_accum_offset 256
		.amdhsa_reserve_vcc 1
		.amdhsa_float_round_mode_32 0
		.amdhsa_float_round_mode_16_64 0
		.amdhsa_float_denorm_mode_32 3
		.amdhsa_float_denorm_mode_16_64 3
		.amdhsa_dx10_clamp 1
		.amdhsa_ieee_mode 1
		.amdhsa_fp16_overflow 0
		.amdhsa_tg_split 0
		.amdhsa_exception_fp_ieee_invalid_op 0
		.amdhsa_exception_fp_denorm_src 0
		.amdhsa_exception_fp_ieee_div_zero 0
		.amdhsa_exception_fp_ieee_overflow 0
		.amdhsa_exception_fp_ieee_underflow 0
		.amdhsa_exception_fp_ieee_inexact 0
		.amdhsa_exception_int_div_zero 0
	.end_amdhsa_kernel
	.text
.Lfunc_end0:
	.size	fft_rtc_back_len2700_factors_3_10_10_3_3_wgs_90_tpt_90_halfLds_dp_ip_CI_unitstride_sbrr_R2C_dirReg, .Lfunc_end0-fft_rtc_back_len2700_factors_3_10_10_3_3_wgs_90_tpt_90_halfLds_dp_ip_CI_unitstride_sbrr_R2C_dirReg
                                        ; -- End function
	.section	.AMDGPU.csdata,"",@progbits
; Kernel info:
; codeLenInByte = 22640
; NumSgprs: 31
; NumVgprs: 256
; NumAgprs: 12
; TotalNumVgprs: 268
; ScratchSize: 0
; MemoryBound: 0
; FloatMode: 240
; IeeeMode: 1
; LDSByteSize: 0 bytes/workgroup (compile time only)
; SGPRBlocks: 3
; VGPRBlocks: 33
; NumSGPRsForWavesPerEU: 31
; NumVGPRsForWavesPerEU: 268
; AccumOffset: 256
; Occupancy: 1
; WaveLimiterHint : 1
; COMPUTE_PGM_RSRC2:SCRATCH_EN: 0
; COMPUTE_PGM_RSRC2:USER_SGPR: 2
; COMPUTE_PGM_RSRC2:TRAP_HANDLER: 0
; COMPUTE_PGM_RSRC2:TGID_X_EN: 1
; COMPUTE_PGM_RSRC2:TGID_Y_EN: 0
; COMPUTE_PGM_RSRC2:TGID_Z_EN: 0
; COMPUTE_PGM_RSRC2:TIDIG_COMP_CNT: 0
; COMPUTE_PGM_RSRC3_GFX90A:ACCUM_OFFSET: 63
; COMPUTE_PGM_RSRC3_GFX90A:TG_SPLIT: 0
	.text
	.p2alignl 6, 3212836864
	.fill 256, 4, 3212836864
	.type	__hip_cuid_50ce6a2c6df99799,@object ; @__hip_cuid_50ce6a2c6df99799
	.section	.bss,"aw",@nobits
	.globl	__hip_cuid_50ce6a2c6df99799
__hip_cuid_50ce6a2c6df99799:
	.byte	0                               ; 0x0
	.size	__hip_cuid_50ce6a2c6df99799, 1

	.ident	"AMD clang version 19.0.0git (https://github.com/RadeonOpenCompute/llvm-project roc-6.4.0 25133 c7fe45cf4b819c5991fe208aaa96edf142730f1d)"
	.section	".note.GNU-stack","",@progbits
	.addrsig
	.addrsig_sym __hip_cuid_50ce6a2c6df99799
	.amdgpu_metadata
---
amdhsa.kernels:
  - .agpr_count:     12
    .args:
      - .actual_access:  read_only
        .address_space:  global
        .offset:         0
        .size:           8
        .value_kind:     global_buffer
      - .offset:         8
        .size:           8
        .value_kind:     by_value
      - .actual_access:  read_only
        .address_space:  global
        .offset:         16
        .size:           8
        .value_kind:     global_buffer
      - .actual_access:  read_only
        .address_space:  global
        .offset:         24
        .size:           8
        .value_kind:     global_buffer
      - .offset:         32
        .size:           8
        .value_kind:     by_value
      - .actual_access:  read_only
        .address_space:  global
        .offset:         40
        .size:           8
        .value_kind:     global_buffer
      - .actual_access:  read_only
        .address_space:  global
        .offset:         48
        .size:           8
        .value_kind:     global_buffer
      - .offset:         56
        .size:           4
        .value_kind:     by_value
      - .actual_access:  read_only
        .address_space:  global
        .offset:         64
        .size:           8
        .value_kind:     global_buffer
      - .actual_access:  read_only
        .address_space:  global
        .offset:         72
        .size:           8
        .value_kind:     global_buffer
      - .address_space:  global
        .offset:         80
        .size:           8
        .value_kind:     global_buffer
    .group_segment_fixed_size: 0
    .kernarg_segment_align: 8
    .kernarg_segment_size: 88
    .language:       OpenCL C
    .language_version:
      - 2
      - 0
    .max_flat_workgroup_size: 90
    .name:           fft_rtc_back_len2700_factors_3_10_10_3_3_wgs_90_tpt_90_halfLds_dp_ip_CI_unitstride_sbrr_R2C_dirReg
    .private_segment_fixed_size: 0
    .sgpr_count:     31
    .sgpr_spill_count: 0
    .symbol:         fft_rtc_back_len2700_factors_3_10_10_3_3_wgs_90_tpt_90_halfLds_dp_ip_CI_unitstride_sbrr_R2C_dirReg.kd
    .uniform_work_group_size: 1
    .uses_dynamic_stack: false
    .vgpr_count:     268
    .vgpr_spill_count: 4
    .wavefront_size: 64
amdhsa.target:   amdgcn-amd-amdhsa--gfx950
amdhsa.version:
  - 1
  - 2
...

	.end_amdgpu_metadata
